;; amdgpu-corpus repo=ROCm/rocFFT kind=compiled arch=gfx1030 opt=O3
	.text
	.amdgcn_target "amdgcn-amd-amdhsa--gfx1030"
	.amdhsa_code_object_version 6
	.protected	fft_rtc_fwd_len3200_factors_10_10_4_4_2_wgs_160_tpt_160_halfLds_half_ip_CI_unitstride_sbrr_C2R_dirReg ; -- Begin function fft_rtc_fwd_len3200_factors_10_10_4_4_2_wgs_160_tpt_160_halfLds_half_ip_CI_unitstride_sbrr_C2R_dirReg
	.globl	fft_rtc_fwd_len3200_factors_10_10_4_4_2_wgs_160_tpt_160_halfLds_half_ip_CI_unitstride_sbrr_C2R_dirReg
	.p2align	8
	.type	fft_rtc_fwd_len3200_factors_10_10_4_4_2_wgs_160_tpt_160_halfLds_half_ip_CI_unitstride_sbrr_C2R_dirReg,@function
fft_rtc_fwd_len3200_factors_10_10_4_4_2_wgs_160_tpt_160_halfLds_half_ip_CI_unitstride_sbrr_C2R_dirReg: ; @fft_rtc_fwd_len3200_factors_10_10_4_4_2_wgs_160_tpt_160_halfLds_half_ip_CI_unitstride_sbrr_C2R_dirReg
; %bb.0:
	s_clause 0x2
	s_load_dwordx4 s[8:11], s[4:5], 0x0
	s_load_dwordx2 s[2:3], s[4:5], 0x50
	s_load_dwordx2 s[12:13], s[4:5], 0x18
	v_mul_u32_u24_e32 v1, 0x19a, v0
	v_mov_b32_e32 v3, 0
	v_add_nc_u32_sdwa v5, s6, v1 dst_sel:DWORD dst_unused:UNUSED_PAD src0_sel:DWORD src1_sel:WORD_1
	v_mov_b32_e32 v1, 0
	v_mov_b32_e32 v6, v3
	v_mov_b32_e32 v2, 0
	s_waitcnt lgkmcnt(0)
	v_cmp_lt_u64_e64 s0, s[10:11], 2
	s_and_b32 vcc_lo, exec_lo, s0
	s_cbranch_vccnz .LBB0_8
; %bb.1:
	s_load_dwordx2 s[0:1], s[4:5], 0x10
	v_mov_b32_e32 v1, 0
	s_add_u32 s6, s12, 8
	v_mov_b32_e32 v2, 0
	s_addc_u32 s7, s13, 0
	s_mov_b64 s[16:17], 1
	s_waitcnt lgkmcnt(0)
	s_add_u32 s14, s0, 8
	s_addc_u32 s15, s1, 0
.LBB0_2:                                ; =>This Inner Loop Header: Depth=1
	s_load_dwordx2 s[18:19], s[14:15], 0x0
                                        ; implicit-def: $vgpr7_vgpr8
	s_mov_b32 s0, exec_lo
	s_waitcnt lgkmcnt(0)
	v_or_b32_e32 v4, s19, v6
	v_cmpx_ne_u64_e32 0, v[3:4]
	s_xor_b32 s1, exec_lo, s0
	s_cbranch_execz .LBB0_4
; %bb.3:                                ;   in Loop: Header=BB0_2 Depth=1
	v_cvt_f32_u32_e32 v4, s18
	v_cvt_f32_u32_e32 v7, s19
	s_sub_u32 s0, 0, s18
	s_subb_u32 s20, 0, s19
	v_fmac_f32_e32 v4, 0x4f800000, v7
	v_rcp_f32_e32 v4, v4
	v_mul_f32_e32 v4, 0x5f7ffffc, v4
	v_mul_f32_e32 v7, 0x2f800000, v4
	v_trunc_f32_e32 v7, v7
	v_fmac_f32_e32 v4, 0xcf800000, v7
	v_cvt_u32_f32_e32 v7, v7
	v_cvt_u32_f32_e32 v4, v4
	v_mul_lo_u32 v8, s0, v7
	v_mul_hi_u32 v9, s0, v4
	v_mul_lo_u32 v10, s20, v4
	v_add_nc_u32_e32 v8, v9, v8
	v_mul_lo_u32 v9, s0, v4
	v_add_nc_u32_e32 v8, v8, v10
	v_mul_hi_u32 v10, v4, v9
	v_mul_lo_u32 v11, v4, v8
	v_mul_hi_u32 v12, v4, v8
	v_mul_hi_u32 v13, v7, v9
	v_mul_lo_u32 v9, v7, v9
	v_mul_hi_u32 v14, v7, v8
	v_mul_lo_u32 v8, v7, v8
	v_add_co_u32 v10, vcc_lo, v10, v11
	v_add_co_ci_u32_e32 v11, vcc_lo, 0, v12, vcc_lo
	v_add_co_u32 v9, vcc_lo, v10, v9
	v_add_co_ci_u32_e32 v9, vcc_lo, v11, v13, vcc_lo
	v_add_co_ci_u32_e32 v10, vcc_lo, 0, v14, vcc_lo
	v_add_co_u32 v8, vcc_lo, v9, v8
	v_add_co_ci_u32_e32 v9, vcc_lo, 0, v10, vcc_lo
	v_add_co_u32 v4, vcc_lo, v4, v8
	v_add_co_ci_u32_e32 v7, vcc_lo, v7, v9, vcc_lo
	v_mul_hi_u32 v8, s0, v4
	v_mul_lo_u32 v10, s20, v4
	v_mul_lo_u32 v9, s0, v7
	v_add_nc_u32_e32 v8, v8, v9
	v_mul_lo_u32 v9, s0, v4
	v_add_nc_u32_e32 v8, v8, v10
	v_mul_hi_u32 v10, v4, v9
	v_mul_lo_u32 v11, v4, v8
	v_mul_hi_u32 v12, v4, v8
	v_mul_hi_u32 v13, v7, v9
	v_mul_lo_u32 v9, v7, v9
	v_mul_hi_u32 v14, v7, v8
	v_mul_lo_u32 v8, v7, v8
	v_add_co_u32 v10, vcc_lo, v10, v11
	v_add_co_ci_u32_e32 v11, vcc_lo, 0, v12, vcc_lo
	v_add_co_u32 v9, vcc_lo, v10, v9
	v_add_co_ci_u32_e32 v9, vcc_lo, v11, v13, vcc_lo
	v_add_co_ci_u32_e32 v10, vcc_lo, 0, v14, vcc_lo
	v_add_co_u32 v8, vcc_lo, v9, v8
	v_add_co_ci_u32_e32 v9, vcc_lo, 0, v10, vcc_lo
	v_add_co_u32 v4, vcc_lo, v4, v8
	v_add_co_ci_u32_e32 v11, vcc_lo, v7, v9, vcc_lo
	v_mul_hi_u32 v13, v5, v4
	v_mad_u64_u32 v[9:10], null, v6, v4, 0
	v_mad_u64_u32 v[7:8], null, v5, v11, 0
	;; [unrolled: 1-line block ×3, first 2 shown]
	v_add_co_u32 v4, vcc_lo, v13, v7
	v_add_co_ci_u32_e32 v7, vcc_lo, 0, v8, vcc_lo
	v_add_co_u32 v4, vcc_lo, v4, v9
	v_add_co_ci_u32_e32 v4, vcc_lo, v7, v10, vcc_lo
	v_add_co_ci_u32_e32 v7, vcc_lo, 0, v12, vcc_lo
	v_add_co_u32 v4, vcc_lo, v4, v11
	v_add_co_ci_u32_e32 v9, vcc_lo, 0, v7, vcc_lo
	v_mul_lo_u32 v10, s19, v4
	v_mad_u64_u32 v[7:8], null, s18, v4, 0
	v_mul_lo_u32 v11, s18, v9
	v_sub_co_u32 v7, vcc_lo, v5, v7
	v_add3_u32 v8, v8, v11, v10
	v_sub_nc_u32_e32 v10, v6, v8
	v_subrev_co_ci_u32_e64 v10, s0, s19, v10, vcc_lo
	v_add_co_u32 v11, s0, v4, 2
	v_add_co_ci_u32_e64 v12, s0, 0, v9, s0
	v_sub_co_u32 v13, s0, v7, s18
	v_sub_co_ci_u32_e32 v8, vcc_lo, v6, v8, vcc_lo
	v_subrev_co_ci_u32_e64 v10, s0, 0, v10, s0
	v_cmp_le_u32_e32 vcc_lo, s18, v13
	v_cmp_eq_u32_e64 s0, s19, v8
	v_cndmask_b32_e64 v13, 0, -1, vcc_lo
	v_cmp_le_u32_e32 vcc_lo, s19, v10
	v_cndmask_b32_e64 v14, 0, -1, vcc_lo
	v_cmp_le_u32_e32 vcc_lo, s18, v7
	;; [unrolled: 2-line block ×3, first 2 shown]
	v_cndmask_b32_e64 v15, 0, -1, vcc_lo
	v_cmp_eq_u32_e32 vcc_lo, s19, v10
	v_cndmask_b32_e64 v7, v15, v7, s0
	v_cndmask_b32_e32 v10, v14, v13, vcc_lo
	v_add_co_u32 v13, vcc_lo, v4, 1
	v_add_co_ci_u32_e32 v14, vcc_lo, 0, v9, vcc_lo
	v_cmp_ne_u32_e32 vcc_lo, 0, v10
	v_cndmask_b32_e32 v8, v14, v12, vcc_lo
	v_cndmask_b32_e32 v10, v13, v11, vcc_lo
	v_cmp_ne_u32_e32 vcc_lo, 0, v7
	v_cndmask_b32_e32 v8, v9, v8, vcc_lo
	v_cndmask_b32_e32 v7, v4, v10, vcc_lo
.LBB0_4:                                ;   in Loop: Header=BB0_2 Depth=1
	s_andn2_saveexec_b32 s0, s1
	s_cbranch_execz .LBB0_6
; %bb.5:                                ;   in Loop: Header=BB0_2 Depth=1
	v_cvt_f32_u32_e32 v4, s18
	s_sub_i32 s1, 0, s18
	v_rcp_iflag_f32_e32 v4, v4
	v_mul_f32_e32 v4, 0x4f7ffffe, v4
	v_cvt_u32_f32_e32 v4, v4
	v_mul_lo_u32 v7, s1, v4
	v_mul_hi_u32 v7, v4, v7
	v_add_nc_u32_e32 v4, v4, v7
	v_mul_hi_u32 v4, v5, v4
	v_mul_lo_u32 v7, v4, s18
	v_add_nc_u32_e32 v8, 1, v4
	v_sub_nc_u32_e32 v7, v5, v7
	v_subrev_nc_u32_e32 v9, s18, v7
	v_cmp_le_u32_e32 vcc_lo, s18, v7
	v_cndmask_b32_e32 v7, v7, v9, vcc_lo
	v_cndmask_b32_e32 v4, v4, v8, vcc_lo
	v_cmp_le_u32_e32 vcc_lo, s18, v7
	v_add_nc_u32_e32 v8, 1, v4
	v_cndmask_b32_e32 v7, v4, v8, vcc_lo
	v_mov_b32_e32 v8, v3
.LBB0_6:                                ;   in Loop: Header=BB0_2 Depth=1
	s_or_b32 exec_lo, exec_lo, s0
	s_load_dwordx2 s[0:1], s[6:7], 0x0
	v_mul_lo_u32 v4, v8, s18
	v_mul_lo_u32 v11, v7, s19
	v_mad_u64_u32 v[9:10], null, v7, s18, 0
	s_add_u32 s16, s16, 1
	s_addc_u32 s17, s17, 0
	s_add_u32 s6, s6, 8
	s_addc_u32 s7, s7, 0
	;; [unrolled: 2-line block ×3, first 2 shown]
	v_add3_u32 v4, v10, v11, v4
	v_sub_co_u32 v5, vcc_lo, v5, v9
	v_sub_co_ci_u32_e32 v4, vcc_lo, v6, v4, vcc_lo
	s_waitcnt lgkmcnt(0)
	v_mul_lo_u32 v6, s1, v5
	v_mul_lo_u32 v4, s0, v4
	v_mad_u64_u32 v[1:2], null, s0, v5, v[1:2]
	v_cmp_ge_u64_e64 s0, s[16:17], s[10:11]
	s_and_b32 vcc_lo, exec_lo, s0
	v_add3_u32 v2, v6, v2, v4
	s_cbranch_vccnz .LBB0_9
; %bb.7:                                ;   in Loop: Header=BB0_2 Depth=1
	v_mov_b32_e32 v5, v7
	v_mov_b32_e32 v6, v8
	s_branch .LBB0_2
.LBB0_8:
	v_mov_b32_e32 v8, v6
	v_mov_b32_e32 v7, v5
.LBB0_9:
	s_lshl_b64 s[0:1], s[10:11], 3
	v_mul_hi_u32 v4, 0x199999a, v0
	s_add_u32 s0, s12, s0
	s_addc_u32 s1, s13, s1
	s_load_dwordx2 s[0:1], s[0:1], 0x0
	s_load_dwordx2 s[4:5], s[4:5], 0x20
	s_waitcnt lgkmcnt(0)
	v_mul_lo_u32 v5, s0, v8
	v_mul_lo_u32 v6, s1, v7
	v_mad_u64_u32 v[2:3], null, s0, v7, v[1:2]
	v_mul_u32_u24_e32 v1, 0xa0, v4
	v_cmp_gt_u64_e32 vcc_lo, s[4:5], v[7:8]
	v_sub_nc_u32_e32 v0, v0, v1
	v_add3_u32 v3, v6, v3, v5
	v_mov_b32_e32 v1, 0
	v_mov_b32_e32 v16, v0
	v_lshlrev_b64 v[18:19], 2, v[2:3]
	s_and_saveexec_b32 s1, vcc_lo
	s_cbranch_execz .LBB0_13
; %bb.10:
	v_lshlrev_b64 v[5:6], 2, v[0:1]
	v_add_co_u32 v3, s0, s2, v18
	v_add_co_ci_u32_e64 v4, s0, s3, v19, s0
	v_or_b32_e32 v9, 0x500, v0
	v_add_co_u32 v5, s0, v3, v5
	v_mov_b32_e32 v10, v1
	v_add_co_ci_u32_e64 v6, s0, v4, v6, s0
	v_add_co_u32 v7, s0, 0x800, v5
	v_lshlrev_b64 v[9:10], 2, v[9:10]
	v_add_co_ci_u32_e64 v8, s0, 0, v6, s0
	v_add_co_u32 v11, s0, 0x1000, v5
	v_add_co_ci_u32_e64 v12, s0, 0, v6, s0
	v_or_b32_e32 v13, 0xa00, v0
	v_mov_b32_e32 v14, v1
	s_clause 0x7
	global_load_dword v17, v[5:6], off
	global_load_dword v20, v[5:6], off offset:640
	global_load_dword v21, v[5:6], off offset:1280
	;; [unrolled: 1-line block ×7, first 2 shown]
	v_add_co_u32 v7, s0, v3, v9
	v_add_co_ci_u32_e64 v8, s0, v4, v10, s0
	v_add_co_u32 v9, s0, 0x1800, v5
	v_lshlrev_b64 v[13:14], 2, v[13:14]
	v_add_co_ci_u32_e64 v10, s0, 0, v6, s0
	v_add_co_u32 v15, s0, 0x2000, v5
	v_add_co_ci_u32_e64 v16, s0, 0, v6, s0
	s_clause 0x5
	global_load_dword v27, v[9:10], off offset:256
	global_load_dword v28, v[9:10], off offset:896
	;; [unrolled: 1-line block ×6, first 2 shown]
	v_add_co_u32 v9, s0, v3, v13
	v_add_co_ci_u32_e64 v10, s0, v4, v14, s0
	v_add_co_u32 v5, s0, 0x2800, v5
	v_add_co_ci_u32_e64 v6, s0, 0, v6, s0
	s_clause 0x5
	global_load_dword v7, v[7:8], off
	global_load_dword v8, v[11:12], off offset:1664
	global_load_dword v9, v[9:10], off
	global_load_dword v10, v[5:6], off offset:640
	global_load_dword v11, v[5:6], off offset:1280
	global_load_dword v5, v[5:6], off offset:1920
	v_lshl_add_u32 v6, v0, 2, 0
	v_mov_b32_e32 v2, v1
	v_cmp_eq_u32_e64 s0, 0x9f, v0
	v_mov_b32_e32 v1, v0
	v_add_nc_u32_e32 v12, 0x400, v6
	v_add_nc_u32_e32 v13, 0xa00, v6
	;; [unrolled: 1-line block ×9, first 2 shown]
	s_waitcnt vmcnt(18)
	ds_write2_b32 v6, v17, v20 offset1:160
	s_waitcnt vmcnt(16)
	ds_write2_b32 v12, v21, v22 offset0:64 offset1:224
	s_waitcnt vmcnt(14)
	ds_write2_b32 v13, v23, v24 offset1:160
	s_waitcnt vmcnt(12)
	ds_write2_b32 v14, v25, v26 offset0:64 offset1:224
	s_waitcnt vmcnt(4)
	ds_write2_b32 v16, v7, v8 offset1:160
	ds_write2_b32 v32, v27, v28 offset0:64 offset1:224
	ds_write2_b32 v33, v29, v30 offset1:160
	ds_write2_b32 v34, v31, v15 offset0:64 offset1:224
	s_waitcnt vmcnt(2)
	ds_write2_b32 v35, v9, v10 offset1:160
	s_waitcnt vmcnt(0)
	ds_write2_b32 v36, v11, v5 offset0:64 offset1:224
	s_and_saveexec_b32 s4, s0
	s_cbranch_execz .LBB0_12
; %bb.11:
	v_add_co_u32 v0, s0, 0x3000, v3
	v_add_co_ci_u32_e64 v1, s0, 0, v4, s0
	v_mov_b32_e32 v4, 0
	global_load_dword v3, v[0:1], off offset:512
	v_mov_b32_e32 v1, 0x9f
	v_mov_b32_e32 v2, 0
	;; [unrolled: 1-line block ×3, first 2 shown]
	s_waitcnt vmcnt(0)
	ds_write_b32 v4, v3 offset:12800
.LBB0_12:
	s_or_b32 exec_lo, exec_lo, s4
	v_mov_b32_e32 v16, v0
	v_mov_b32_e32 v0, v1
	;; [unrolled: 1-line block ×3, first 2 shown]
.LBB0_13:
	s_or_b32 exec_lo, exec_lo, s1
	v_lshlrev_b32_e32 v2, 2, v16
	s_waitcnt lgkmcnt(0)
	s_barrier
	buffer_gl0_inv
	v_lshlrev_b64 v[20:21], 2, v[0:1]
	v_add_nc_u32_e32 v26, 0, v2
	v_sub_nc_u32_e32 v2, 0, v2
	s_add_u32 s1, s8, 0x31d8
	s_addc_u32 s4, s9, 0
	s_mov_b32 s5, exec_lo
	ds_read_u16 v3, v26
	ds_read_u16 v4, v2 offset:12800
	s_waitcnt lgkmcnt(0)
	v_add_f16_e32 v0, v4, v3
	v_sub_f16_e32 v1, v3, v4
	v_cmpx_ne_u32_e32 0, v16
	s_xor_b32 s5, exec_lo, s5
	s_cbranch_execz .LBB0_15
; %bb.14:
	v_add_co_u32 v0, s0, s1, v20
	v_add_co_ci_u32_e64 v1, s0, s4, v21, s0
	v_add_f16_e32 v6, v4, v3
	v_sub_f16_e32 v3, v3, v4
	global_load_dword v5, v[0:1], off
	ds_read_u16 v0, v2 offset:12802
	ds_read_u16 v1, v26 offset:2
	s_waitcnt lgkmcnt(0)
	v_add_f16_e32 v4, v0, v1
	v_sub_f16_e32 v0, v1, v0
	s_waitcnt vmcnt(0)
	v_lshrrev_b32_e32 v7, 16, v5
	v_fma_f16 v8, -v3, v7, v6
	v_fma_f16 v9, v4, v7, -v0
	v_fma_f16 v6, v3, v7, v6
	v_fma_f16 v1, v4, v7, v0
	v_fmac_f16_e32 v8, v5, v4
	v_fmac_f16_e32 v9, v3, v5
	v_fma_f16 v0, -v5, v4, v6
	v_fmac_f16_e32 v1, v3, v5
	v_pack_b32_f16 v4, v8, v9
	ds_write_b32 v2, v4 offset:12800
.LBB0_15:
	s_andn2_saveexec_b32 s0, s5
	s_cbranch_execz .LBB0_17
; %bb.16:
	v_mov_b32_e32 v3, 0
	ds_read_b32 v4, v3 offset:6400
	s_waitcnt lgkmcnt(0)
	v_pk_mul_f16 v4, 0xc0004000, v4
	ds_write_b32 v3, v4 offset:6400
.LBB0_17:
	s_or_b32 exec_lo, exec_lo, s0
	v_mov_b32_e32 v17, 0
	v_perm_b32 v0, v1, v0, 0x5040100
	v_add_nc_u32_e32 v36, 0xa0, v16
	v_mov_b32_e32 v41, 9
	v_add_nc_u32_e32 v28, 0x1400, v26
	v_lshlrev_b64 v[22:23], 2, v[16:17]
	v_mov_b32_e32 v1, v17
	v_add_nc_u32_e32 v29, 0x1e00, v26
	v_add_nc_u32_e32 v30, 0x2800, v26
	;; [unrolled: 1-line block ×4, first 2 shown]
	v_add_co_u32 v3, s0, s1, v22
	v_add_co_ci_u32_e64 v4, s0, s4, v23, s0
	v_add_nc_u32_e32 v33, 0x1800, v26
	v_add_co_u32 v5, s0, 0x800, v3
	s_clause 0x2
	global_load_dword v7, v[3:4], off offset:640
	global_load_dword v8, v[3:4], off offset:1280
	;; [unrolled: 1-line block ×3, first 2 shown]
	v_add_co_ci_u32_e64 v6, s0, 0, v4, s0
	v_add_co_u32 v3, s0, 0x1000, v3
	s_clause 0x2
	global_load_dword v10, v[5:6], off offset:512
	global_load_dword v11, v[5:6], off offset:1152
	;; [unrolled: 1-line block ×3, first 2 shown]
	v_add_co_ci_u32_e64 v4, s0, 0, v4, s0
	ds_write_b32 v26, v0
	v_or_b32_e32 v0, 0x500, v16
	v_add_nc_u32_e32 v34, 0x2200, v26
	global_load_dword v13, v[3:4], off offset:384
	ds_read_b32 v14, v26 offset:640
	ds_read_b32 v15, v2 offset:12160
	v_add_nc_u32_e32 v35, 0x2c00, v26
	v_lshlrev_b64 v[24:25], 2, v[0:1]
	global_load_dword v0, v[3:4], off offset:1664
	v_add_co_u32 v5, s0, s1, v24
	v_add_co_ci_u32_e64 v6, s0, s4, v25, s0
	v_cmp_gt_u32_e64 s0, 0x64, v16
	global_load_dword v5, v[5:6], off
	s_waitcnt lgkmcnt(0)
	v_add_f16_e32 v1, v14, v15
	v_add_f16_sdwa v3, v15, v14 dst_sel:DWORD dst_unused:UNUSED_PAD src0_sel:WORD_1 src1_sel:WORD_1
	v_sub_f16_e32 v4, v14, v15
	v_sub_f16_sdwa v14, v14, v15 dst_sel:DWORD dst_unused:UNUSED_PAD src0_sel:WORD_1 src1_sel:WORD_1
	s_waitcnt vmcnt(8)
	v_lshrrev_b32_e32 v27, 16, v7
	v_fma_f16 v6, v4, v27, v1
	v_fma_f16 v15, v3, v27, v14
	v_fma_f16 v1, -v4, v27, v1
	v_fma_f16 v14, v3, v27, -v14
	v_add_nc_u32_e32 v27, 0xa00, v26
	v_fma_f16 v6, -v7, v3, v6
	v_fmac_f16_e32 v15, v4, v7
	v_fmac_f16_e32 v1, v7, v3
	;; [unrolled: 1-line block ×3, first 2 shown]
	s_waitcnt vmcnt(7)
	v_lshrrev_b32_e32 v4, 16, v8
	v_pack_b32_f16 v3, v6, v15
	v_pack_b32_f16 v1, v1, v14
	ds_write_b32 v26, v3 offset:640
	ds_write_b32 v2, v1 offset:12160
	ds_read_b32 v1, v26 offset:1280
	ds_read_b32 v3, v2 offset:11520
	s_waitcnt lgkmcnt(0)
	v_add_f16_e32 v6, v1, v3
	v_add_f16_sdwa v7, v3, v1 dst_sel:DWORD dst_unused:UNUSED_PAD src0_sel:WORD_1 src1_sel:WORD_1
	v_sub_f16_e32 v14, v1, v3
	v_sub_f16_sdwa v1, v1, v3 dst_sel:DWORD dst_unused:UNUSED_PAD src0_sel:WORD_1 src1_sel:WORD_1
	v_fma_f16 v3, v14, v4, v6
	v_fma_f16 v15, v7, v4, v1
	v_fma_f16 v6, -v14, v4, v6
	v_fma_f16 v1, v7, v4, -v1
	s_waitcnt vmcnt(6)
	v_lshrrev_b32_e32 v4, 16, v9
	v_fma_f16 v3, -v8, v7, v3
	v_fmac_f16_e32 v15, v14, v8
	v_fmac_f16_e32 v6, v8, v7
	v_fmac_f16_e32 v1, v14, v8
	v_pack_b32_f16 v3, v3, v15
	v_pack_b32_f16 v1, v6, v1
	ds_write_b32 v26, v3 offset:1280
	ds_write_b32 v2, v1 offset:11520
	ds_read_b32 v1, v26 offset:1920
	ds_read_b32 v3, v2 offset:10880
	s_waitcnt lgkmcnt(0)
	v_add_f16_e32 v6, v1, v3
	v_add_f16_sdwa v7, v3, v1 dst_sel:DWORD dst_unused:UNUSED_PAD src0_sel:WORD_1 src1_sel:WORD_1
	v_sub_f16_e32 v8, v1, v3
	v_sub_f16_sdwa v1, v1, v3 dst_sel:DWORD dst_unused:UNUSED_PAD src0_sel:WORD_1 src1_sel:WORD_1
	v_fma_f16 v3, v8, v4, v6
	v_fma_f16 v14, v7, v4, v1
	v_fma_f16 v6, -v8, v4, v6
	v_fma_f16 v1, v7, v4, -v1
	s_waitcnt vmcnt(5)
	v_lshrrev_b32_e32 v4, 16, v10
	v_fma_f16 v3, -v9, v7, v3
	v_fmac_f16_e32 v14, v8, v9
	v_fmac_f16_e32 v6, v9, v7
	v_fmac_f16_e32 v1, v8, v9
	;; [unrolled: 21-line block ×6, first 2 shown]
	v_pack_b32_f16 v3, v3, v9
	v_pack_b32_f16 v1, v6, v1
	ds_write_b32 v26, v3 offset:4480
	ds_write_b32 v2, v1 offset:8320
	ds_read_b32 v1, v26 offset:5120
	ds_read_b32 v3, v2 offset:7680
	s_waitcnt lgkmcnt(0)
	v_add_f16_e32 v6, v1, v3
	v_add_f16_sdwa v7, v3, v1 dst_sel:DWORD dst_unused:UNUSED_PAD src0_sel:WORD_1 src1_sel:WORD_1
	v_sub_f16_e32 v8, v1, v3
	v_sub_f16_sdwa v1, v1, v3 dst_sel:DWORD dst_unused:UNUSED_PAD src0_sel:WORD_1 src1_sel:WORD_1
	v_fma_f16 v3, v8, v4, v6
	v_fma_f16 v9, v7, v4, v1
	v_fma_f16 v6, -v8, v4, v6
	v_fma_f16 v1, v7, v4, -v1
	v_and_b32_e32 v4, 0xff, v16
	v_fma_f16 v3, -v5, v7, v3
	v_fmac_f16_e32 v9, v8, v5
	v_fmac_f16_e32 v6, v5, v7
	;; [unrolled: 1-line block ×3, first 2 shown]
	v_mov_b32_e32 v5, 0xcccd
	v_pack_b32_f16 v3, v3, v9
	v_pack_b32_f16 v1, v6, v1
	ds_write_b32 v26, v3 offset:5120
	ds_write_b32 v2, v1 offset:7680
	ds_read_b32 v1, v26 offset:5760
	ds_read_b32 v3, v2 offset:7040
	v_lshrrev_b32_e32 v6, 16, v0
	s_waitcnt lgkmcnt(0)
	v_add_f16_e32 v7, v1, v3
	v_add_f16_sdwa v8, v3, v1 dst_sel:DWORD dst_unused:UNUSED_PAD src0_sel:WORD_1 src1_sel:WORD_1
	v_sub_f16_e32 v9, v1, v3
	v_sub_f16_sdwa v1, v1, v3 dst_sel:DWORD dst_unused:UNUSED_PAD src0_sel:WORD_1 src1_sel:WORD_1
	v_mul_lo_u16 v3, 0xcd, v4
	v_mul_u32_u24_sdwa v4, v36, v5 dst_sel:DWORD dst_unused:UNUSED_PAD src0_sel:WORD_0 src1_sel:DWORD
	v_fma_f16 v5, v9, v6, v7
	v_fma_f16 v10, v8, v6, v1
	v_lshrrev_b16 v37, 11, v3
	v_fma_f16 v7, -v9, v6, v7
	v_fma_f16 v1, v8, v6, -v1
	v_lshrrev_b32_e32 v38, 19, v4
	v_fma_f16 v3, -v0, v8, v5
	v_mul_lo_u16 v4, v37, 10
	v_fmac_f16_e32 v10, v9, v0
	v_fmac_f16_e32 v7, v0, v8
	;; [unrolled: 1-line block ×3, first 2 shown]
	v_mul_lo_u16 v5, v38, 10
	v_sub_nc_u16 v39, v16, v4
	v_pack_b32_f16 v3, v3, v10
	v_mad_u32_u24 v0, v16, 36, v26
	v_pack_b32_f16 v1, v7, v1
	v_sub_nc_u16 v40, v36, v5
	v_mul_u32_u24_sdwa v42, v39, v41 dst_sel:DWORD dst_unused:UNUSED_PAD src0_sel:BYTE_0 src1_sel:DWORD
	ds_write_b32 v26, v3 offset:5760
	ds_write_b32 v2, v1 offset:7040
	s_waitcnt lgkmcnt(0)
	s_barrier
	buffer_gl0_inv
	s_barrier
	buffer_gl0_inv
	ds_read2_b32 v[6:7], v27 offset1:160
	ds_read2_b32 v[8:9], v28 offset1:160
	;; [unrolled: 1-line block ×5, first 2 shown]
	v_mul_u32_u24_sdwa v51, v40, v41 dst_sel:DWORD dst_unused:UNUSED_PAD src0_sel:WORD_0 src1_sel:DWORD
	v_lshlrev_b32_e32 v52, 2, v42
	ds_read2_b32 v[41:42], v32 offset0:64 offset1:224
	ds_read2_b32 v[43:44], v31 offset0:64 offset1:224
	;; [unrolled: 1-line block ×5, first 2 shown]
	v_add_nc_u32_e32 v1, 0x1900, v0
	v_add_nc_u32_e32 v2, 0x1908, v0
	;; [unrolled: 1-line block ×5, first 2 shown]
	s_waitcnt lgkmcnt(0)
	s_barrier
	buffer_gl0_inv
	v_sub_f16_e32 v57, v6, v8
	v_add_f16_e32 v53, v8, v10
	v_add_f16_e32 v58, v6, v12
	v_add_f16_e32 v69, v9, v11
	v_add_f16_e32 v74, v7, v13
	v_pk_add_f16 v77, v15, v7
	v_pk_add_f16 v86, v42, v44
	v_sub_f16_sdwa v54, v6, v12 dst_sel:DWORD dst_unused:UNUSED_PAD src0_sel:WORD_1 src1_sel:WORD_1
	v_sub_f16_e32 v60, v8, v6
	v_pk_add_f16 v61, v14, v6
	v_sub_f16_e32 v63, v6, v12
	v_sub_f16_sdwa v65, v6, v8 dst_sel:DWORD dst_unused:UNUSED_PAD src0_sel:WORD_1 src1_sel:WORD_1
	v_sub_f16_sdwa v66, v12, v10 dst_sel:DWORD dst_unused:UNUSED_PAD src0_sel:WORD_1 src1_sel:WORD_1
	v_add_f16_sdwa v67, v6, v12 dst_sel:DWORD dst_unused:UNUSED_PAD src0_sel:WORD_1 src1_sel:WORD_1
	v_sub_f16_sdwa v6, v8, v6 dst_sel:DWORD dst_unused:UNUSED_PAD src0_sel:WORD_1 src1_sel:WORD_1
	v_sub_f16_sdwa v68, v10, v12 dst_sel:DWORD dst_unused:UNUSED_PAD src0_sel:WORD_1 src1_sel:WORD_1
	;; [unrolled: 1-line block ×3, first 2 shown]
	v_sub_f16_e32 v73, v7, v9
	v_sub_f16_e32 v76, v9, v7
	v_add_f16_sdwa v78, v9, v11 dst_sel:DWORD dst_unused:UNUSED_PAD src0_sel:WORD_1 src1_sel:WORD_1
	v_sub_f16_e32 v80, v9, v11
	v_sub_f16_sdwa v81, v7, v9 dst_sel:DWORD dst_unused:UNUSED_PAD src0_sel:WORD_1 src1_sel:WORD_1
	v_sub_f16_sdwa v82, v9, v7 dst_sel:DWORD dst_unused:UNUSED_PAD src0_sel:WORD_1 src1_sel:WORD_1
	v_pk_add_f16 v85, v41, v43
	v_add_f16_e32 v87, v45, v47
	v_sub_f16_e32 v89, v43, v45
	v_sub_f16_e32 v90, v45, v43
	v_add_f16_sdwa v91, v45, v47 dst_sel:DWORD dst_unused:UNUSED_PAD src0_sel:WORD_1 src1_sel:WORD_1
	v_sub_f16_sdwa v93, v43, v45 dst_sel:DWORD dst_unused:UNUSED_PAD src0_sel:WORD_1 src1_sel:WORD_1
	v_sub_f16_sdwa v94, v45, v43 dst_sel:DWORD dst_unused:UNUSED_PAD src0_sel:WORD_1 src1_sel:WORD_1
	v_add_f16_e32 v95, v46, v48
	v_sub_f16_sdwa v96, v46, v48 dst_sel:DWORD dst_unused:UNUSED_PAD src0_sel:WORD_1 src1_sel:WORD_1
	v_sub_f16_e32 v97, v44, v46
	v_sub_f16_e32 v98, v46, v44
	v_add_f16_sdwa v99, v46, v48 dst_sel:DWORD dst_unused:UNUSED_PAD src0_sel:WORD_1 src1_sel:WORD_1
	v_sub_f16_e32 v100, v46, v48
	v_sub_f16_sdwa v101, v44, v46 dst_sel:DWORD dst_unused:UNUSED_PAD src0_sel:WORD_1 src1_sel:WORD_1
	v_sub_f16_sdwa v102, v46, v44 dst_sel:DWORD dst_unused:UNUSED_PAD src0_sel:WORD_1 src1_sel:WORD_1
	;; [unrolled: 1-line block ×3, first 2 shown]
	v_add_f16_e32 v104, v43, v49
	v_sub_f16_e32 v105, v43, v49
	v_add_f16_sdwa v43, v43, v49 dst_sel:DWORD dst_unused:UNUSED_PAD src0_sel:WORD_1 src1_sel:WORD_1
	v_add_f16_e32 v107, v44, v50
	v_pk_add_f16 v9, v77, v9
	v_sub_f16_sdwa v77, v49, v47 dst_sel:DWORD dst_unused:UNUSED_PAD src0_sel:WORD_1 src1_sel:WORD_1
	v_pk_add_f16 v46, v86, v46
	v_lshrrev_b32_e32 v86, 16, v14
	v_fma_f16 v53, -0.5, v53, v14
	v_fma_f16 v14, -0.5, v58, v14
	;; [unrolled: 1-line block ×4, first 2 shown]
	v_lshrrev_b32_e32 v74, 16, v41
	v_sub_f16_e32 v56, v12, v10
	v_add_f16_sdwa v62, v8, v10 dst_sel:DWORD dst_unused:UNUSED_PAD src0_sel:WORD_1 src1_sel:WORD_1
	v_sub_f16_sdwa v70, v7, v13 dst_sel:DWORD dst_unused:UNUSED_PAD src0_sel:WORD_1 src1_sel:WORD_1
	v_sub_f16_e32 v72, v13, v11
	v_sub_f16_e32 v75, v11, v13
	;; [unrolled: 1-line block ×3, first 2 shown]
	v_sub_f16_sdwa v83, v13, v11 dst_sel:DWORD dst_unused:UNUSED_PAD src0_sel:WORD_1 src1_sel:WORD_1
	v_add_f16_sdwa v7, v7, v13 dst_sel:DWORD dst_unused:UNUSED_PAD src0_sel:WORD_1 src1_sel:WORD_1
	v_sub_f16_sdwa v84, v11, v13 dst_sel:DWORD dst_unused:UNUSED_PAD src0_sel:WORD_1 src1_sel:WORD_1
	v_sub_f16_sdwa v88, v45, v47 dst_sel:DWORD dst_unused:UNUSED_PAD src0_sel:WORD_1 src1_sel:WORD_1
	v_sub_f16_e32 v92, v45, v47
	v_sub_f16_sdwa v106, v44, v50 dst_sel:DWORD dst_unused:UNUSED_PAD src0_sel:WORD_1 src1_sel:WORD_1
	v_sub_f16_e32 v108, v44, v50
	v_add_f16_sdwa v44, v44, v50 dst_sel:DWORD dst_unused:UNUSED_PAD src0_sel:WORD_1 src1_sel:WORD_1
	v_lshrrev_b32_e32 v15, 16, v15
	v_fma_f16 v87, -0.5, v87, v41
	v_fma_f16 v41, -0.5, v104, v41
	;; [unrolled: 1-line block ×4, first 2 shown]
	v_lshrrev_b32_e32 v42, 16, v42
	v_add_f16_e32 v65, v65, v66
	v_sub_f16_sdwa v66, v48, v50 dst_sel:DWORD dst_unused:UNUSED_PAD src0_sel:WORD_1 src1_sel:WORD_1
	v_add_f16_e32 v6, v6, v68
	v_add_f16_e32 v68, v93, v77
	v_fma_f16 v77, -0.5, v91, v74
	v_fmac_f16_e32 v74, -0.5, v43
	v_sub_f16_sdwa v55, v8, v10 dst_sel:DWORD dst_unused:UNUSED_PAD src0_sel:WORD_1 src1_sel:WORD_1
	v_sub_f16_e32 v59, v10, v12
	v_sub_f16_e32 v64, v8, v10
	v_sub_f16_e32 v109, v49, v47
	v_pk_add_f16 v8, v61, v8
	v_sub_f16_e32 v61, v47, v49
	v_pk_add_f16 v45, v85, v45
	v_sub_f16_sdwa v85, v47, v49 dst_sel:DWORD dst_unused:UNUSED_PAD src0_sel:WORD_1 src1_sel:WORD_1
	v_sub_f16_e32 v107, v50, v48
	v_add_f16_e32 v56, v57, v56
	v_sub_f16_e32 v57, v48, v50
	v_fma_f16 v62, -0.5, v62, v86
	v_fmac_f16_e32 v86, -0.5, v67
	v_add_f16_e32 v72, v73, v72
	v_add_f16_e32 v73, v76, v75
	;; [unrolled: 1-line block ×3, first 2 shown]
	v_fma_f16 v76, -0.5, v78, v15
	v_fmac_f16_e32 v15, -0.5, v7
	v_add_f16_e32 v7, v82, v84
	v_fma_f16 v81, -0.5, v99, v42
	v_fmac_f16_e32 v42, -0.5, v44
	v_add_f16_e32 v44, v102, v66
	v_fmamk_f16 v66, v103, 0x3b9c, v87
	v_fmac_f16_e32 v87, 0xbb9c, v103
	v_fmamk_f16 v82, v88, 0xbb9c, v41
	v_fmac_f16_e32 v41, 0x3b9c, v88
	;; [unrolled: 2-line block ×4, first 2 shown]
	v_add_f16_e32 v59, v60, v59
	v_sub_f16_sdwa v60, v50, v48 dst_sel:DWORD dst_unused:UNUSED_PAD src0_sel:WORD_1 src1_sel:WORD_1
	v_add_f16_e32 v67, v89, v109
	v_add_f16_e32 v61, v90, v61
	;; [unrolled: 1-line block ×5, first 2 shown]
	v_pk_add_f16 v8, v8, v10
	v_pk_add_f16 v9, v9, v11
	;; [unrolled: 1-line block ×4, first 2 shown]
	v_fmamk_f16 v48, v64, 0x3b9c, v86
	v_fmac_f16_e32 v86, 0xbb9c, v64
	v_fmamk_f16 v91, v80, 0x3b9c, v15
	v_fmac_f16_e32 v15, 0xbb9c, v80
	;; [unrolled: 2-line block ×6, first 2 shown]
	v_fmac_f16_e32 v66, 0x38b4, v88
	v_fmac_f16_e32 v87, 0xb8b4, v88
	;; [unrolled: 1-line block ×7, first 2 shown]
	v_add_f16_e32 v60, v101, v60
	v_fmamk_f16 v45, v54, 0x3b9c, v53
	v_fmac_f16_e32 v53, 0xbb9c, v54
	v_fmamk_f16 v46, v55, 0xbb9c, v14
	v_fmac_f16_e32 v14, 0x3b9c, v55
	v_fmamk_f16 v47, v63, 0xbb9c, v62
	v_pk_add_f16 v8, v8, v12
	v_pk_add_f16 v9, v9, v13
	;; [unrolled: 1-line block ×4, first 2 shown]
	v_fmac_f16_e32 v48, 0xb8b4, v63
	v_fmac_f16_e32 v86, 0x38b4, v63
	;; [unrolled: 1-line block ×20, first 2 shown]
	v_fmamk_f16 v85, v70, 0x3b9c, v58
	v_fmac_f16_e32 v58, 0xbb9c, v70
	v_fmamk_f16 v89, v71, 0xbb9c, v69
	v_fmac_f16_e32 v69, 0x3b9c, v71
	v_fmamk_f16 v90, v79, 0xbb9c, v76
	v_fmac_f16_e32 v76, 0x3b9c, v79
	v_fmac_f16_e32 v45, 0x38b4, v55
	v_fmac_f16_e32 v53, 0xb8b4, v55
	;; [unrolled: 1-line block ×9, first 2 shown]
	v_pk_add_f16 v6, v8, v10
	v_pk_add_f16 v8, v8, v10 neg_lo:[0,1] neg_hi:[0,1]
	v_fmac_f16_e32 v91, 0x34f2, v7
	v_fmac_f16_e32 v15, 0x34f2, v7
	;; [unrolled: 1-line block ×9, first 2 shown]
	v_pk_add_f16 v7, v9, v11
	v_pk_add_f16 v9, v9, v11 neg_lo:[0,1] neg_hi:[0,1]
	v_mul_f16_e32 v10, 0x3a79, v66
	v_mul_f16_e32 v11, 0xb8b4, v66
	v_mul_f16_e32 v12, 0x3b9c, v84
	v_mul_f16_e32 v13, 0x34f2, v41
	v_mul_f16_e32 v43, 0x3a79, v87
	v_mul_f16_e32 v44, 0xbb9c, v82
	v_mul_f16_e32 v49, 0x34f2, v74
	v_fmac_f16_e32 v62, 0x38b4, v64
	v_mul_f16_e32 v50, 0x3a79, v77
	v_fmac_f16_e32 v85, 0x38b4, v71
	v_fmac_f16_e32 v58, 0xb8b4, v71
	;; [unrolled: 1-line block ×12, first 2 shown]
	v_mul_f16_e32 v54, 0x3b9c, v98
	v_mul_f16_e32 v55, 0x3a79, v93
	;; [unrolled: 1-line block ×8, first 2 shown]
	v_fmac_f16_e32 v10, 0x38b4, v83
	v_fmac_f16_e32 v11, 0x3a79, v83
	;; [unrolled: 1-line block ×3, first 2 shown]
	v_fma_f16 v13, v74, 0x3b9c, -v13
	v_fma_f16 v43, v77, 0x38b4, -v43
	v_fmac_f16_e32 v44, 0x34f2, v84
	v_fma_f16 v41, v41, 0xbb9c, -v49
	v_fmac_f16_e32 v62, 0x34f2, v65
	;; [unrolled: 2-line block ×3, first 2 shown]
	v_fmac_f16_e32 v58, 0x34f2, v72
	v_fmac_f16_e32 v89, 0x34f2, v73
	v_fmac_f16_e32 v69, 0x34f2, v73
	v_fmac_f16_e32 v90, 0x34f2, v75
	v_fmac_f16_e32 v76, 0x34f2, v75
	v_fmac_f16_e32 v54, 0x34f2, v94
	v_fmac_f16_e32 v55, 0x38b4, v97
	v_fmac_f16_e32 v56, 0x3a79, v97
	v_fma_f16 v42, v42, 0x3b9c, -v57
	v_fmac_f16_e32 v59, 0x34f2, v98
	v_fma_f16 v50, v81, 0x38b4, -v60
	v_fma_f16 v57, v104, 0xbb9c, -v61
	;; [unrolled: 1-line block ×3, first 2 shown]
	v_add_f16_e32 v61, v45, v10
	v_sub_f16_e32 v10, v45, v10
	v_add_f16_e32 v45, v46, v12
	v_sub_f16_e32 v12, v46, v12
	v_add_f16_e32 v46, v14, v13
	v_sub_f16_e32 v13, v14, v13
	v_add_f16_e32 v14, v53, v43
	v_sub_f16_e32 v43, v53, v43
	v_add_f16_e32 v53, v47, v11
	v_sub_f16_e32 v11, v47, v11
	v_add_f16_e32 v47, v48, v44
	v_sub_f16_e32 v44, v48, v44
	v_add_f16_e32 v48, v86, v41
	v_add_f16_e32 v63, v62, v49
	v_sub_f16_e32 v41, v86, v41
	v_sub_f16_e32 v49, v62, v49
	v_add_f16_e32 v62, v85, v55
	v_sub_f16_e32 v55, v85, v55
	v_add_f16_e32 v64, v89, v54
	;; [unrolled: 2-line block ×8, first 2 shown]
	v_sub_f16_e32 v60, v76, v60
	v_pack_b32_f16 v53, v61, v53
	v_pack_b32_f16 v46, v46, v48
	;; [unrolled: 1-line block ×16, first 2 shown]
	ds_write2_b32 v0, v6, v53 offset1:1
	ds_write2_b32 v0, v45, v46 offset0:2 offset1:3
	ds_write2_b32 v0, v14, v8 offset0:4 offset1:5
	ds_write2_b32 v0, v10, v11 offset0:6 offset1:7
	ds_write2_b32 v0, v13, v12 offset0:8 offset1:9
	ds_write2_b32 v1, v7, v41 offset1:1
	ds_write2_b32 v2, v44, v43 offset1:1
	;; [unrolled: 1-line block ×5, first 2 shown]
	s_waitcnt lgkmcnt(0)
	s_barrier
	buffer_gl0_inv
	global_load_dwordx4 v[8:11], v52, s[8:9]
	v_lshlrev_b32_e32 v41, 2, v51
	s_clause 0x4
	global_load_dwordx4 v[4:7], v41, s[8:9]
	global_load_dwordx4 v[0:3], v52, s[8:9] offset:16
	global_load_dwordx4 v[12:15], v41, s[8:9] offset:16
	global_load_dword v43, v52, s[8:9] offset:32
	global_load_dword v42, v41, s[8:9] offset:32
	v_add_nc_u32_e32 v44, 0x140, v16
	v_mov_b32_e32 v45, 0x147b
	v_add_nc_u16 v56, v16, 0x1e0
	v_add_nc_u16 v49, v16, 0x280
	v_lshrrev_b16 v47, 2, v36
	v_lshrrev_b16 v50, 2, v44
	v_mov_b32_e32 v46, 0x190
	v_lshrrev_b16 v51, 2, v56
	v_lshrrev_b16 v52, 2, v49
	v_mul_u32_u24_sdwa v47, v47, v45 dst_sel:DWORD dst_unused:UNUSED_PAD src0_sel:WORD_0 src1_sel:DWORD
	v_mul_u32_u24_sdwa v50, v50, v45 dst_sel:DWORD dst_unused:UNUSED_PAD src0_sel:WORD_0 src1_sel:DWORD
	;; [unrolled: 1-line block ×5, first 2 shown]
	v_lshrrev_b32_e32 v45, 17, v47
	v_lshrrev_b32_e32 v37, 17, v50
	v_mov_b32_e32 v41, 2
	v_lshrrev_b32_e32 v46, 17, v51
	v_mul_u32_u24_e32 v66, 0x190, v38
	v_mul_lo_u16 v38, 0x64, v45
	v_mul_lo_u16 v54, 0x64, v37
	v_mov_b32_e32 v48, 3
	v_mul_lo_u16 v57, 0x64, v46
	v_lshlrev_b32_sdwa v59, v41, v39 dst_sel:DWORD dst_unused:UNUSED_PAD src0_sel:DWORD src1_sel:BYTE_0
	v_sub_nc_u16 v39, v36, v38
	v_lshrrev_b32_e32 v47, 17, v52
	ds_read2_b32 v[50:51], v28 offset1:160
	ds_read2_b32 v[52:53], v32 offset0:64 offset1:224
	v_sub_nc_u16 v36, v44, v54
	ds_read2_b32 v[54:55], v27 offset1:160
	v_lshlrev_b32_sdwa v40, v41, v40 dst_sel:DWORD dst_unused:UNUSED_PAD src0_sel:DWORD src1_sel:WORD_0
	v_sub_nc_u16 v38, v56, v57
	ds_read2_b32 v[56:57], v31 offset0:64 offset1:224
	v_mul_u32_u24_sdwa v67, v39, v48 dst_sel:DWORD dst_unused:UNUSED_PAD src0_sel:WORD_0 src1_sel:DWORD
	v_add3_u32 v72, 0, v58, v59
	ds_read2_b32 v[58:59], v33 offset0:64 offset1:224
	ds_read2_b32 v[60:61], v29 offset1:160
	ds_read2_b32 v[62:63], v34 offset0:64 offset1:224
	ds_read2_b32 v[64:65], v30 offset1:160
	v_add3_u32 v40, 0, v66, v40
	v_add_nc_u32_e32 v70, 0xffffff9c, v16
	v_lshlrev_b32_e32 v74, 2, v67
	ds_read2_b32 v[66:67], v35 offset0:64 offset1:224
	ds_read2_b32 v[68:69], v26 offset1:160
	v_mul_u32_u24_sdwa v73, v36, v48 dst_sel:DWORD dst_unused:UNUSED_PAD src0_sel:WORD_0 src1_sel:DWORD
	s_waitcnt vmcnt(0) lgkmcnt(0)
	s_barrier
	buffer_gl0_inv
	v_mul_lo_u16 v71, 0x64, v47
	v_mul_u32_u24_e32 v46, 0x640, v46
	v_lshrrev_b32_e32 v75, 16, v50
	v_lshrrev_b32_e32 v77, 16, v52
	;; [unrolled: 1-line block ×20, first 2 shown]
	v_mul_u32_u24_e32 v47, 0x640, v47
	v_mul_f16_sdwa v95, v8, v52 dst_sel:DWORD dst_unused:UNUSED_PAD src0_sel:WORD_1 src1_sel:DWORD
	v_mul_f16_sdwa v96, v8, v77 dst_sel:DWORD dst_unused:UNUSED_PAD src0_sel:WORD_1 src1_sel:DWORD
	;; [unrolled: 1-line block ×5, first 2 shown]
	v_mul_f16_sdwa v100, v50, v11 dst_sel:DWORD dst_unused:UNUSED_PAD src0_sel:DWORD src1_sel:WORD_1
	v_mul_f16_sdwa v102, v75, v11 dst_sel:DWORD dst_unused:UNUSED_PAD src0_sel:DWORD src1_sel:WORD_1
	;; [unrolled: 1-line block ×4, first 2 shown]
	v_fmac_f16_e32 v95, v8, v77
	v_mul_f16_sdwa v77, v51, v7 dst_sel:DWORD dst_unused:UNUSED_PAD src0_sel:DWORD src1_sel:WORD_1
	v_mul_f16_sdwa v101, v10, v80 dst_sel:DWORD dst_unused:UNUSED_PAD src0_sel:WORD_1 src1_sel:DWORD
	v_mul_f16_sdwa v105, v53, v4 dst_sel:DWORD dst_unused:UNUSED_PAD src0_sel:DWORD src1_sel:WORD_1
	v_mul_f16_sdwa v106, v81, v6 dst_sel:DWORD dst_unused:UNUSED_PAD src0_sel:DWORD src1_sel:WORD_1
	;; [unrolled: 1-line block ×5, first 2 shown]
	v_fmac_f16_e32 v97, v9, v79
	v_mul_f16_sdwa v79, v58, v0 dst_sel:DWORD dst_unused:UNUSED_PAD src0_sel:DWORD src1_sel:WORD_1
	v_fmac_f16_e32 v99, v10, v80
	v_mul_f16_sdwa v80, v60, v1 dst_sel:DWORD dst_unused:UNUSED_PAD src0_sel:DWORD src1_sel:WORD_1
	;; [unrolled: 2-line block ×3, first 2 shown]
	v_fma_f16 v8, v8, v52, -v96
	v_fma_f16 v9, v9, v54, -v98
	;; [unrolled: 1-line block ×3, first 2 shown]
	v_mul_f16_sdwa v50, v83, v0 dst_sel:DWORD dst_unused:UNUSED_PAD src0_sel:DWORD src1_sel:WORD_1
	v_mul_f16_sdwa v52, v84, v1 dst_sel:DWORD dst_unused:UNUSED_PAD src0_sel:DWORD src1_sel:WORD_1
	;; [unrolled: 1-line block ×4, first 2 shown]
	v_fma_f16 v55, v55, v5, -v104
	v_mul_f16_sdwa v102, v88, v13 dst_sel:DWORD dst_unused:UNUSED_PAD src0_sel:DWORD src1_sel:WORD_1
	v_mul_f16_sdwa v104, v89, v14 dst_sel:DWORD dst_unused:UNUSED_PAD src0_sel:DWORD src1_sel:WORD_1
	v_fma_f16 v51, v51, v7, -v108
	v_mul_f16_sdwa v108, v90, v15 dst_sel:DWORD dst_unused:UNUSED_PAD src0_sel:DWORD src1_sel:WORD_1
	v_fmac_f16_e32 v77, v82, v7
	v_mul_f16_sdwa v7, v92, v42 dst_sel:DWORD dst_unused:UNUSED_PAD src0_sel:DWORD src1_sel:WORD_1
	v_fma_f16 v10, v10, v56, -v101
	v_mul_f16_sdwa v56, v64, v3 dst_sel:DWORD dst_unused:UNUSED_PAD src0_sel:DWORD src1_sel:WORD_1
	v_mul_f16_sdwa v96, v86, v3 dst_sel:DWORD dst_unused:UNUSED_PAD src0_sel:DWORD src1_sel:WORD_1
	;; [unrolled: 1-line block ×3, first 2 shown]
	v_fma_f16 v57, v57, v6, -v106
	v_mul_f16_sdwa v106, v63, v14 dst_sel:DWORD dst_unused:UNUSED_PAD src0_sel:DWORD src1_sel:WORD_1
	v_fmac_f16_e32 v105, v76, v4
	v_mul_f16_sdwa v76, v67, v42 dst_sel:DWORD dst_unused:UNUSED_PAD src0_sel:DWORD src1_sel:WORD_1
	v_fma_f16 v53, v53, v4, -v103
	v_mul_f16_sdwa v103, v61, v13 dst_sel:DWORD dst_unused:UNUSED_PAD src0_sel:DWORD src1_sel:WORD_1
	v_mul_f16_sdwa v4, v65, v15 dst_sel:DWORD dst_unused:UNUSED_PAD src0_sel:DWORD src1_sel:WORD_1
	v_fmac_f16_e32 v107, v78, v5
	v_mul_f16_sdwa v5, v66, v43 dst_sel:DWORD dst_unused:UNUSED_PAD src0_sel:DWORD src1_sel:WORD_1
	v_fmac_f16_e32 v109, v81, v6
	;; [unrolled: 2-line block ×3, first 2 shown]
	v_fmac_f16_e32 v80, v84, v1
	v_fmac_f16_e32 v75, v85, v2
	v_fma_f16 v0, v58, v0, -v50
	v_fma_f16 v1, v60, v1, -v52
	;; [unrolled: 1-line block ×8, first 2 shown]
	v_fmac_f16_e32 v56, v86, v3
	v_fma_f16 v3, v64, v3, -v96
	v_fmac_f16_e32 v101, v87, v12
	v_fmac_f16_e32 v106, v89, v14
	;; [unrolled: 1-line block ×6, first 2 shown]
	v_fma_f16 v6, v66, v43, -v6
	v_add_f16_e32 v12, v51, v52
	v_add_f16_e32 v13, v55, v58
	v_sub_f16_e32 v15, v51, v55
	v_sub_f16_e32 v42, v52, v58
	v_add_f16_e32 v43, v50, v54
	v_add_f16_e32 v59, v57, v7
	v_sub_f16_e32 v61, v50, v57
	v_sub_f16_e32 v62, v54, v7
	;; [unrolled: 1-line block ×10, first 2 shown]
	v_add_f16_e32 v14, v69, v55
	v_add_f16_e32 v60, v53, v57
	;; [unrolled: 1-line block ×6, first 2 shown]
	v_sub_f16_e32 v89, v100, v97
	v_sub_f16_e32 v90, v80, v56
	;; [unrolled: 1-line block ×4, first 2 shown]
	v_add_f16_e32 v96, v0, v2
	v_add_f16_e32 v98, v10, v6
	v_fma_f16 v12, -0.5, v12, v69
	v_fmac_f16_e32 v69, -0.5, v13
	v_sub_f16_e32 v13, v99, v79
	v_add_f16_e32 v15, v15, v42
	v_sub_f16_e32 v42, v5, v75
	v_fma_f16 v43, -0.5, v43, v53
	v_fmac_f16_e32 v53, -0.5, v59
	v_add_f16_e32 v59, v79, v75
	v_add_f16_e32 v61, v61, v62
	;; [unrolled: 1-line block ×4, first 2 shown]
	v_sub_f16_e32 v67, v79, v99
	v_add_f16_e32 v78, v78, v81
	v_sub_f16_e32 v81, v75, v5
	v_add_f16_e32 v82, v82, v83
	;; [unrolled: 2-line block ×4, first 2 shown]
	v_add_f16_e32 v88, v94, v97
	v_sub_f16_e32 v102, v0, v10
	v_sub_f16_e32 v104, v2, v6
	v_add_f16_e32 v108, v8, v10
	v_fma_f16 v63, -0.5, v63, v105
	v_fmac_f16_e32 v105, -0.5, v64
	v_add_f16_e32 v64, v95, v99
	v_fma_f16 v86, -0.5, v86, v94
	v_fmac_f16_e32 v94, -0.5, v87
	v_sub_f16_e32 v87, v107, v77
	v_add_f16_e32 v89, v89, v90
	v_sub_f16_e32 v90, v4, v103
	v_add_f16_e32 v91, v91, v92
	v_add_f16_e32 v92, v77, v103
	v_fma_f16 v96, -0.5, v96, v8
	v_fmac_f16_e32 v8, -0.5, v98
	v_add_f16_e32 v98, v107, v4
	v_add_f16_e32 v13, v13, v42
	v_sub_f16_e32 v42, v77, v107
	v_fma_f16 v59, -0.5, v59, v95
	v_fmac_f16_e32 v95, -0.5, v62
	v_sub_f16_e32 v62, v103, v4
	v_add_f16_e32 v67, v67, v81
	v_sub_f16_e32 v81, v57, v50
	v_add_f16_e32 v83, v83, v85
	;; [unrolled: 2-line block ×3, first 2 shown]
	v_add_f16_e32 v104, v93, v107
	v_add_f16_e32 v87, v87, v90
	v_sub_f16_e32 v90, v109, v101
	v_fma_f16 v92, -0.5, v92, v93
	v_fmac_f16_e32 v93, -0.5, v98
	v_sub_f16_e32 v98, v76, v106
	v_add_f16_e32 v42, v42, v62
	v_add_f16_e32 v62, v68, v9
	;; [unrolled: 1-line block ×5, first 2 shown]
	v_sub_f16_e32 v98, v11, v1
	v_add_f16_e32 v11, v62, v11
	v_sub_f16_e32 v62, v100, v80
	v_add_f16_e32 v88, v88, v100
	;; [unrolled: 2-line block ×8, first 2 shown]
	v_add_f16_e32 v101, v9, v3
	v_sub_f16_e32 v9, v9, v3
	v_sub_f16_e32 v10, v10, v6
	;; [unrolled: 1-line block ×4, first 2 shown]
	v_fma_f16 v85, -0.5, v85, v68
	v_sub_f16_e32 v109, v109, v76
	v_sub_f16_e32 v57, v57, v7
	v_fma_f16 v68, -0.5, v101, v68
	v_add_f16_e32 v1, v11, v1
	v_add_f16_e32 v11, v88, v80
	;; [unrolled: 1-line block ×8, first 2 shown]
	v_fmamk_f16 v75, v9, 0xbb9c, v86
	v_fmac_f16_e32 v86, 0x3b9c, v9
	v_fmamk_f16 v77, v98, 0x3b9c, v94
	v_fmac_f16_e32 v94, 0xbb9c, v98
	v_fmamk_f16 v80, v99, 0x3b9c, v96
	v_fmamk_f16 v101, v10, 0xbb9c, v59
	v_fmac_f16_e32 v59, 0x3b9c, v10
	v_fmamk_f16 v103, v100, 0x3b9c, v95
	v_fmac_f16_e32 v95, 0xbb9c, v100
	;; [unrolled: 2-line block ×4, first 2 shown]
	v_fmac_f16_e32 v96, 0xbb9c, v99
	v_sub_f16_e32 v107, v107, v4
	v_add_f16_e32 v1, v1, v3
	v_add_f16_e32 v11, v11, v56
	v_fmac_f16_e32 v75, 0xb8b4, v98
	v_fmac_f16_e32 v86, 0x38b4, v98
	v_fmamk_f16 v98, v109, 0x3b9c, v43
	v_fmac_f16_e32 v43, 0xbb9c, v109
	v_fmac_f16_e32 v77, 0xb8b4, v9
	;; [unrolled: 1-line block ×3, first 2 shown]
	v_fmamk_f16 v9, v60, 0xbb9c, v53
	v_fmac_f16_e32 v53, 0x3b9c, v60
	v_add_f16_e32 v0, v0, v6
	v_fmamk_f16 v6, v57, 0xbb9c, v63
	v_fmac_f16_e32 v63, 0x3b9c, v57
	v_fmac_f16_e32 v80, 0x38b4, v108
	v_fmamk_f16 v106, v104, 0x3b9c, v105
	v_fmac_f16_e32 v105, 0xbb9c, v104
	v_add_f16_e32 v2, v2, v5
	v_fmac_f16_e32 v101, 0xb8b4, v100
	v_fmac_f16_e32 v59, 0x38b4, v100
	;; [unrolled: 1-line block ×4, first 2 shown]
	v_add_f16_e32 v5, v14, v58
	v_add_f16_e32 v4, v52, v4
	;; [unrolled: 1-line block ×4, first 2 shown]
	v_fmamk_f16 v65, v62, 0xbb9c, v68
	v_fmac_f16_e32 v68, 0x3b9c, v62
	v_fmac_f16_e32 v64, 0x38b4, v62
	;; [unrolled: 1-line block ×3, first 2 shown]
	v_fmamk_f16 v62, v51, 0xbb9c, v69
	v_fmac_f16_e32 v69, 0x3b9c, v51
	v_fmac_f16_e32 v88, 0x38b4, v99
	;; [unrolled: 1-line block ×3, first 2 shown]
	v_sub_f16_e32 v55, v55, v58
	v_fmamk_f16 v56, v79, 0x3b9c, v93
	v_fmac_f16_e32 v93, 0xbb9c, v79
	v_fmac_f16_e32 v96, 0xb8b4, v108
	;; [unrolled: 1-line block ×13, first 2 shown]
	v_add_f16_e32 v13, v1, v0
	v_sub_f16_e32 v0, v1, v0
	v_add_f16_e32 v1, v11, v2
	v_sub_f16_e32 v2, v11, v2
	;; [unrolled: 2-line block ×4, first 2 shown]
	v_fmac_f16_e32 v69, 0xb8b4, v107
	v_fmac_f16_e32 v62, 0x38b4, v107
	;; [unrolled: 1-line block ×9, first 2 shown]
	v_fmamk_f16 v3, v107, 0x3b9c, v12
	v_fmac_f16_e32 v12, 0xbb9c, v107
	v_fmac_f16_e32 v65, 0x38b4, v97
	;; [unrolled: 1-line block ×3, first 2 shown]
	v_fmamk_f16 v97, v55, 0xbb9c, v92
	v_fmac_f16_e32 v92, 0x3b9c, v55
	v_fmac_f16_e32 v53, 0x34f2, v61
	;; [unrolled: 1-line block ×9, first 2 shown]
	v_pack_b32_f16 v0, v0, v2
	v_pack_b32_f16 v2, v11, v7
	;; [unrolled: 1-line block ×3, first 2 shown]
	v_mul_f16_e32 v5, 0x38b4, v101
	v_mul_f16_e32 v7, 0xb8b4, v80
	v_fmac_f16_e32 v69, 0x34f2, v15
	v_fmac_f16_e32 v62, 0x34f2, v15
	v_pack_b32_f16 v1, v13, v1
	v_mul_f16_e32 v11, 0x3b9c, v103
	v_mul_f16_e32 v13, 0xbb9c, v88
	;; [unrolled: 1-line block ×4, first 2 shown]
	v_fmac_f16_e32 v56, 0x34f2, v42
	v_fmac_f16_e32 v93, 0x34f2, v42
	v_mul_f16_e32 v42, 0x3a79, v96
	v_mul_f16_e32 v50, 0x3a79, v59
	v_fmac_f16_e32 v3, 0x38b4, v51
	v_fmac_f16_e32 v12, 0xb8b4, v51
	;; [unrolled: 1-line block ×6, first 2 shown]
	v_mul_f16_e32 v10, 0x34f2, v53
	v_mul_f16_e32 v51, 0x38b4, v6
	;; [unrolled: 1-line block ×8, first 2 shown]
	v_fmac_f16_e32 v5, 0x3a79, v80
	v_fmac_f16_e32 v7, 0x3a79, v101
	;; [unrolled: 1-line block ×8, first 2 shown]
	v_fma_f16 v14, v95, 0x3b9c, -v14
	v_fma_f16 v8, v8, 0xbb9c, -v15
	v_fmac_f16_e32 v85, 0x34f2, v78
	v_fmac_f16_e32 v86, 0x34f2, v84
	v_fma_f16 v15, v59, 0x38b4, -v42
	v_fma_f16 v42, v96, 0xb8b4, -v50
	v_fmac_f16_e32 v3, 0x34f2, v83
	v_fmac_f16_e32 v12, 0x34f2, v83
	;; [unrolled: 1-line block ×4, first 2 shown]
	v_fma_f16 v10, v105, 0x3b9c, -v10
	v_fmac_f16_e32 v51, 0x3a79, v98
	v_fmac_f16_e32 v52, 0x3a79, v6
	;; [unrolled: 1-line block ×4, first 2 shown]
	v_fma_f16 v6, v53, 0xbb9c, -v57
	v_fma_f16 v9, v63, 0x38b4, -v58
	v_fma_f16 v43, v43, 0xb8b4, -v60
	v_add_f16_e32 v53, v64, v5
	v_add_f16_e32 v60, v75, v7
	;; [unrolled: 1-line block ×6, first 2 shown]
	v_sub_f16_e32 v5, v64, v5
	v_add_f16_e32 v59, v85, v15
	v_add_f16_e32 v64, v86, v42
	v_sub_f16_e32 v11, v65, v11
	v_sub_f16_e32 v7, v75, v7
	;; [unrolled: 1-line block ×7, first 2 shown]
	v_add_f16_e32 v50, v69, v10
	v_sub_f16_e32 v10, v69, v10
	v_add_f16_e32 v65, v3, v51
	v_sub_f16_e32 v3, v3, v51
	;; [unrolled: 2-line block ×8, first 2 shown]
	v_pack_b32_f16 v53, v53, v60
	v_pack_b32_f16 v57, v57, v61
	;; [unrolled: 1-line block ×16, first 2 shown]
	ds_write2_b32 v72, v1, v53 offset1:10
	ds_write2_b32 v72, v57, v58 offset0:20 offset1:30
	ds_write2_b32 v72, v59, v0 offset0:40 offset1:50
	ds_write2_b32 v72, v5, v7 offset0:60 offset1:70
	ds_write2_b32 v72, v8, v11 offset0:80 offset1:90
	ds_write2_b32 v40, v2, v12 offset1:10
	ds_write2_b32 v40, v13, v14 offset0:20 offset1:30
	ds_write2_b32 v40, v15, v4 offset0:40 offset1:50
	;; [unrolled: 1-line block ×4, first 2 shown]
	v_mul_u32_u24_sdwa v1, v38, v48 dst_sel:DWORD dst_unused:UNUSED_PAD src0_sel:WORD_0 src1_sel:DWORD
	v_lshlrev_b32_e32 v0, 2, v73
	v_cndmask_b32_e64 v42, v70, v16, s0
	s_waitcnt lgkmcnt(0)
	s_barrier
	v_lshlrev_b32_e32 v2, 2, v1
	buffer_gl0_inv
	global_load_dwordx3 v[6:8], v0, s[8:9] offset:360
	v_mov_b32_e32 v1, v17
	v_sub_nc_u16 v40, v49, v71
	global_load_dwordx3 v[9:11], v2, s[8:9] offset:360
	v_mul_i32_i24_e32 v0, 3, v42
	global_load_dwordx3 v[12:14], v74, s[8:9] offset:360
	v_add_nc_u32_e32 v15, 0xffffffb0, v16
	v_mul_u32_u24_sdwa v3, v40, v48 dst_sel:DWORD dst_unused:UNUSED_PAD src0_sel:WORD_0 src1_sel:DWORD
	v_mul_u32_u24_e32 v43, 3, v16
	v_lshlrev_b64 v[0:1], 2, v[0:1]
	v_lshlrev_b32_e32 v48, 2, v42
	v_lshlrev_b32_sdwa v51, v41, v38 dst_sel:DWORD dst_unused:UNUSED_PAD src0_sel:DWORD src1_sel:WORD_0
	v_lshlrev_b32_e32 v2, 2, v3
	v_lshlrev_b32_e32 v60, 2, v43
	v_lshlrev_b32_sdwa v52, v41, v40 dst_sel:DWORD dst_unused:UNUSED_PAD src0_sel:DWORD src1_sel:WORD_0
	v_add_co_u32 v0, s0, s8, v0
	global_load_dwordx3 v[3:5], v2, s[8:9] offset:360
	v_add_co_ci_u32_e64 v1, s0, s9, v1, s0
	v_cmp_gt_u32_e64 s0, 0x50, v16
	v_add3_u32 v65, 0, v46, v51
	v_add3_u32 v66, 0, v47, v52
	global_load_dwordx3 v[0:2], v[0:1], off offset:360
	v_mov_b32_e32 v43, v17
	v_cndmask_b32_e64 v15, v15, v44, s0
	v_cmp_lt_u32_e64 s0, 0x63, v16
	v_add_nc_u32_e32 v69, 0x200, v65
	v_add_nc_u32_e32 v70, 0x200, v66
	v_mul_i32_i24_e32 v42, 3, v15
	v_cndmask_b32_e64 v44, 0, 0x640, s0
	v_add_co_u32 v49, s0, s8, v60
	v_add_co_ci_u32_e64 v50, null, s9, 0, s0
	v_add3_u32 v61, 0, v44, v48
	v_mul_u32_u24_e32 v44, 0x640, v45
	v_mul_u32_u24_e32 v45, 0x640, v37
	v_lshlrev_b32_sdwa v37, v41, v39 dst_sel:DWORD dst_unused:UNUSED_PAD src0_sel:DWORD src1_sel:WORD_0
	v_add_co_u32 v48, s0, 0x800, v49
	v_add_co_ci_u32_e64 v49, s0, 0, v50, s0
	v_lshlrev_b32_sdwa v50, v41, v36 dst_sel:DWORD dst_unused:UNUSED_PAD src0_sel:DWORD src1_sel:WORD_0
	v_add3_u32 v63, 0, v44, v37
	ds_read2_b32 v[36:37], v33 offset0:64 offset1:224
	ds_read2_b32 v[38:39], v31 offset0:64 offset1:224
	ds_read2_b32 v[40:41], v30 offset1:160
	v_add_nc_u32_e32 v62, 0x200, v61
	v_lshlrev_b64 v[42:43], 2, v[42:43]
	v_add3_u32 v64, 0, v45, v50
	ds_read2_b32 v[44:45], v29 offset1:160
	ds_read2_b32 v[46:47], v28 offset1:160
	ds_read2_b32 v[50:51], v35 offset0:64 offset1:224
	ds_read2_b32 v[52:53], v34 offset0:64 offset1:224
	ds_read2_b32 v[54:55], v27 offset1:160
	ds_read2_b32 v[56:57], v26 offset1:160
	ds_read2_b32 v[58:59], v32 offset0:64 offset1:224
	s_waitcnt vmcnt(0) lgkmcnt(0)
	s_barrier
	buffer_gl0_inv
	v_add_nc_u32_e32 v67, 0x200, v63
	v_add_nc_u32_e32 v68, 0x200, v64
	v_lshlrev_b32_e32 v15, 2, v15
	v_lshrrev_b32_e32 v71, 16, v37
	v_lshrrev_b32_e32 v72, 16, v38
	;; [unrolled: 1-line block ×20, first 2 shown]
	v_mul_f16_sdwa v97, v74, v6 dst_sel:DWORD dst_unused:UNUSED_PAD src0_sel:DWORD src1_sel:WORD_1
	v_mul_f16_sdwa v99, v39, v6 dst_sel:DWORD dst_unused:UNUSED_PAD src0_sel:DWORD src1_sel:WORD_1
	;; [unrolled: 1-line block ×5, first 2 shown]
	v_mul_f16_sdwa v91, v12, v38 dst_sel:DWORD dst_unused:UNUSED_PAD src0_sel:WORD_1 src1_sel:DWORD
	v_mul_f16_sdwa v92, v37, v13 dst_sel:DWORD dst_unused:UNUSED_PAD src0_sel:DWORD src1_sel:WORD_1
	v_mul_f16_sdwa v93, v12, v72 dst_sel:DWORD dst_unused:UNUSED_PAD src0_sel:WORD_1 src1_sel:DWORD
	v_mul_f16_sdwa v94, v40, v14 dst_sel:DWORD dst_unused:UNUSED_PAD src0_sel:DWORD src1_sel:WORD_1
	v_mul_f16_sdwa v95, v71, v13 dst_sel:DWORD dst_unused:UNUSED_PAD src0_sel:DWORD src1_sel:WORD_1
	;; [unrolled: 1-line block ×8, first 2 shown]
	v_fmac_f16_e32 v91, v12, v72
	v_mul_f16_sdwa v109, v80, v3 dst_sel:DWORD dst_unused:UNUSED_PAD src0_sel:DWORD src1_sel:WORD_1
	v_mul_f16_sdwa v72, v81, v5 dst_sel:DWORD dst_unused:UNUSED_PAD src0_sel:DWORD src1_sel:WORD_1
	v_fmac_f16_e32 v92, v71, v13
	v_mul_f16_sdwa v71, v47, v3 dst_sel:DWORD dst_unused:UNUSED_PAD src0_sel:DWORD src1_sel:WORD_1
	v_fmac_f16_e32 v94, v73, v14
	v_mul_f16_sdwa v73, v51, v5 dst_sel:DWORD dst_unused:UNUSED_PAD src0_sel:DWORD src1_sel:WORD_1
	v_fma_f16 v12, v12, v38, -v93
	v_fma_f16 v13, v37, v13, -v95
	v_fma_f16 v14, v40, v14, -v96
	v_mul_f16_sdwa v37, v52, v4 dst_sel:DWORD dst_unused:UNUSED_PAD src0_sel:DWORD src1_sel:WORD_1
	v_mul_f16_sdwa v38, v82, v4 dst_sel:DWORD dst_unused:UNUSED_PAD src0_sel:DWORD src1_sel:WORD_1
	v_mul_f16_sdwa v40, v1, v83 dst_sel:DWORD dst_unused:UNUSED_PAD src0_sel:WORD_1 src1_sel:DWORD
	v_fma_f16 v39, v39, v6, -v97
	v_mul_f16_sdwa v93, v1, v36 dst_sel:DWORD dst_unused:UNUSED_PAD src0_sel:WORD_1 src1_sel:DWORD
	v_mul_f16_sdwa v95, v2, v84 dst_sel:DWORD dst_unused:UNUSED_PAD src0_sel:WORD_1 src1_sel:DWORD
	;; [unrolled: 1-line block ×4, first 2 shown]
	v_fmac_f16_e32 v99, v74, v6
	v_mul_f16_sdwa v6, v0, v85 dst_sel:DWORD dst_unused:UNUSED_PAD src0_sel:WORD_1 src1_sel:DWORD
	v_mul_f16_sdwa v104, v46, v9 dst_sel:DWORD dst_unused:UNUSED_PAD src0_sel:DWORD src1_sel:WORD_1
	v_mul_f16_sdwa v107, v78, v9 dst_sel:DWORD dst_unused:UNUSED_PAD src0_sel:DWORD src1_sel:WORD_1
	v_fma_f16 v41, v41, v8, -v98
	v_fmac_f16_e32 v100, v76, v7
	v_fmac_f16_e32 v101, v75, v8
	v_fma_f16 v7, v44, v7, -v102
	v_fma_f16 v8, v45, v10, -v103
	v_fmac_f16_e32 v105, v77, v10
	v_fmac_f16_e32 v106, v79, v11
	v_fma_f16 v10, v50, v11, -v108
	v_fma_f16 v11, v47, v3, -v109
	;; [unrolled: 1-line block ×3, first 2 shown]
	v_fmac_f16_e32 v71, v80, v3
	v_fmac_f16_e32 v73, v81, v5
	;; [unrolled: 1-line block ×3, first 2 shown]
	v_fma_f16 v3, v52, v4, -v38
	v_fma_f16 v4, v1, v36, -v40
	;; [unrolled: 1-line block ×3, first 2 shown]
	v_fmac_f16_e32 v93, v1, v83
	v_fmac_f16_e32 v96, v2, v84
	;; [unrolled: 1-line block ×3, first 2 shown]
	v_fma_f16 v0, v0, v55, -v6
	v_fmac_f16_e32 v104, v78, v9
	v_fma_f16 v9, v46, v9, -v107
	v_sub_f16_e32 v1, v56, v4
	v_sub_f16_e32 v2, v57, v13
	v_sub_f16_e32 v4, v58, v7
	v_sub_f16_e32 v6, v59, v8
	v_sub_f16_e32 v5, v0, v5
	v_sub_f16_e32 v7, v97, v96
	v_sub_f16_e32 v8, v86, v93
	v_sub_f16_e32 v13, v12, v14
	v_sub_f16_e32 v14, v91, v94
	v_sub_f16_e32 v36, v87, v92
	v_sub_f16_e32 v38, v39, v41
	v_sub_f16_e32 v41, v88, v100
	v_sub_f16_e32 v3, v54, v3
	v_sub_f16_e32 v40, v99, v101
	v_sub_f16_e32 v44, v11, v44
	v_sub_f16_e32 v47, v71, v73
	v_sub_f16_e32 v37, v90, v37
	v_sub_f16_e32 v10, v9, v10
	v_sub_f16_e32 v45, v104, v106
	v_sub_f16_e32 v46, v89, v105
	v_fma_f16 v50, v56, 2.0, -v1
	v_fma_f16 v51, v57, 2.0, -v2
	;; [unrolled: 1-line block ×4, first 2 shown]
	v_sub_f16_e32 v7, v1, v7
	v_add_f16_e32 v5, v8, v5
	v_fma_f16 v56, v86, 2.0, -v8
	v_fma_f16 v12, v12, 2.0, -v13
	;; [unrolled: 1-line block ×3, first 2 shown]
	v_sub_f16_e32 v14, v2, v14
	v_add_f16_e32 v13, v36, v13
	v_fma_f16 v39, v39, 2.0, -v38
	v_add_f16_e32 v38, v41, v38
	v_fma_f16 v52, v58, 2.0, -v4
	v_fma_f16 v53, v59, 2.0, -v6
	;; [unrolled: 1-line block ×4, first 2 shown]
	v_sub_f16_e32 v40, v4, v40
	v_fma_f16 v11, v11, 2.0, -v44
	v_fma_f16 v71, v71, 2.0, -v47
	v_sub_f16_e32 v47, v3, v47
	v_add_f16_e32 v44, v37, v44
	v_fma_f16 v72, v88, 2.0, -v41
	v_fma_f16 v9, v9, 2.0, -v10
	;; [unrolled: 1-line block ×3, first 2 shown]
	v_sub_f16_e32 v45, v6, v45
	v_add_f16_e32 v10, v46, v10
	v_fma_f16 v54, v54, 2.0, -v3
	v_fma_f16 v74, v89, 2.0, -v46
	;; [unrolled: 1-line block ×5, first 2 shown]
	v_pack_b32_f16 v5, v7, v5
	v_fma_f16 v2, v2, 2.0, -v14
	v_fma_f16 v7, v36, 2.0, -v13
	v_pack_b32_f16 v13, v14, v13
	v_fma_f16 v14, v41, 2.0, -v38
	v_sub_f16_e32 v0, v50, v0
	v_sub_f16_e32 v41, v56, v55
	v_fma_f16 v4, v4, 2.0, -v40
	v_pack_b32_f16 v36, v40, v38
	v_fma_f16 v37, v37, 2.0, -v44
	v_pack_b32_f16 v40, v47, v44
	v_sub_f16_e32 v12, v51, v12
	v_sub_f16_e32 v44, v58, v57
	v_fma_f16 v6, v6, 2.0, -v45
	v_fma_f16 v38, v46, 2.0, -v10
	v_pack_b32_f16 v10, v45, v10
	v_sub_f16_e32 v39, v52, v39
	v_sub_f16_e32 v45, v72, v59
	v_fma_f16 v3, v3, 2.0, -v47
	v_sub_f16_e32 v9, v53, v9
	v_sub_f16_e32 v46, v74, v73
	;; [unrolled: 1-line block ×4, first 2 shown]
	v_pack_b32_f16 v1, v1, v8
	v_fma_f16 v8, v50, 2.0, -v0
	v_fma_f16 v50, v56, 2.0, -v41
	v_pack_b32_f16 v0, v0, v41
	v_fma_f16 v41, v51, 2.0, -v12
	v_fma_f16 v51, v58, 2.0, -v44
	v_pack_b32_f16 v2, v2, v7
	v_pack_b32_f16 v7, v12, v44
	;; [unrolled: 1-line block ×3, first 2 shown]
	v_fma_f16 v12, v52, 2.0, -v39
	v_fma_f16 v14, v72, 2.0, -v45
	v_pack_b32_f16 v39, v39, v45
	v_pack_b32_f16 v6, v6, v38
	v_fma_f16 v38, v53, 2.0, -v9
	v_fma_f16 v44, v74, 2.0, -v46
	v_pack_b32_f16 v3, v3, v37
	v_fma_f16 v37, v54, 2.0, -v11
	v_fma_f16 v45, v75, 2.0, -v47
	v_pack_b32_f16 v8, v8, v50
	ds_write2_b32 v62, v0, v5 offset0:72 offset1:172
	v_pack_b32_f16 v0, v41, v51
	v_pack_b32_f16 v5, v12, v14
	;; [unrolled: 1-line block ×6, first 2 shown]
	ds_write2_b32 v61, v8, v1 offset1:100
	ds_write2_b32 v63, v0, v2 offset1:100
	ds_write2_b32 v67, v7, v13 offset0:72 offset1:172
	ds_write2_b32 v64, v5, v4 offset1:100
	ds_write2_b32 v68, v39, v36 offset0:72 offset1:172
	;; [unrolled: 2-line block ×4, first 2 shown]
	v_add_co_u32 v0, s0, s8, v42
	s_waitcnt lgkmcnt(0)
	s_barrier
	buffer_gl0_inv
	global_load_dwordx3 v[3:5], v[48:49], off offset:1432
	v_add_co_ci_u32_e64 v1, s0, s9, v43, s0
	v_add_nc_u32_e32 v6, 0x3c0, v60
	v_add_nc_u32_e32 v9, 0xb40, v60
	v_add_co_u32 v20, s0, s8, v20
	s_clause 0x3
	global_load_dwordx3 v[0:2], v[0:1], off offset:1560
	global_load_dwordx3 v[6:8], v6, s[8:9] offset:1560
	global_load_dwordx3 v[12:14], v9, s[8:9] offset:1560
	;; [unrolled: 1-line block ×3, first 2 shown]
	v_add_co_ci_u32_e64 v21, s0, s9, v21, s0
	v_cmp_lt_u32_e64 s0, 0x4f, v16
	v_add_nc_u32_e32 v62, 0x1200, v26
	v_add_nc_u32_e32 v60, 0x600, v26
	;; [unrolled: 1-line block ×4, first 2 shown]
	v_cndmask_b32_e64 v36, 0, 0x1900, s0
	v_add_co_u32 v20, s0, 0x1800, v20
	v_add_co_ci_u32_e64 v21, s0, 0, v21, s0
	v_add3_u32 v15, 0, v36, v15
	ds_read2_b32 v[36:37], v33 offset0:64 offset1:224
	ds_read2_b32 v[38:39], v31 offset0:64 offset1:224
	ds_read2_b32 v[40:41], v30 offset1:160
	ds_read2_b32 v[42:43], v29 offset1:160
	;; [unrolled: 1-line block ×3, first 2 shown]
	ds_read2_b32 v[48:49], v35 offset0:64 offset1:224
	ds_read2_b32 v[50:51], v34 offset0:64 offset1:224
	ds_read2_b32 v[54:55], v27 offset1:160
	ds_read2_b32 v[56:57], v26 offset1:160
	ds_read2_b32 v[58:59], v32 offset0:64 offset1:224
	v_add_co_u32 v44, s0, s8, v22
	v_add_co_ci_u32_e64 v45, s0, s9, v23, s0
	s_waitcnt vmcnt(0) lgkmcnt(0)
	v_add_co_u32 v22, s0, 0x2800, v44
	v_add_co_ci_u32_e64 v23, s0, 0, v45, s0
	v_add_co_u32 v52, s0, s8, v24
	v_add_co_ci_u32_e64 v53, s0, s9, v25, s0
	v_add_co_u32 v24, s0, 0x1800, v44
	v_lshrrev_b32_e32 v66, 16, v37
	v_lshrrev_b32_e32 v67, 16, v38
	;; [unrolled: 1-line block ×20, first 2 shown]
	v_add_co_ci_u32_e64 v25, s0, 0, v45, s0
	v_add_co_u32 v44, s0, 0x2000, v44
	v_add_co_ci_u32_e64 v45, s0, 0, v45, s0
	v_add_co_u32 v52, s0, 0x1800, v52
	v_add_co_ci_u32_e64 v53, s0, 0, v53, s0
	s_barrier
	buffer_gl0_inv
	v_add_nc_u32_e32 v64, 0x2000, v26
	v_add_nc_u32_e32 v65, 0x2600, v26
	v_mul_f16_sdwa v86, v3, v38 dst_sel:DWORD dst_unused:UNUSED_PAD src0_sel:WORD_1 src1_sel:DWORD
	v_mul_f16_sdwa v87, v37, v4 dst_sel:DWORD dst_unused:UNUSED_PAD src0_sel:DWORD src1_sel:WORD_1
	v_mul_f16_sdwa v88, v3, v67 dst_sel:DWORD dst_unused:UNUSED_PAD src0_sel:WORD_1 src1_sel:DWORD
	v_mul_f16_sdwa v89, v40, v5 dst_sel:DWORD dst_unused:UNUSED_PAD src0_sel:DWORD src1_sel:WORD_1
	v_mul_f16_sdwa v90, v66, v4 dst_sel:DWORD dst_unused:UNUSED_PAD src0_sel:DWORD src1_sel:WORD_1
	;; [unrolled: 1-line block ×3, first 2 shown]
	v_fmac_f16_e32 v86, v3, v67
	v_mul_f16_sdwa v92, v69, v0 dst_sel:DWORD dst_unused:UNUSED_PAD src0_sel:DWORD src1_sel:WORD_1
	v_mul_f16_sdwa v93, v70, v2 dst_sel:DWORD dst_unused:UNUSED_PAD src0_sel:DWORD src1_sel:WORD_1
	v_mul_f16_sdwa v94, v39, v0 dst_sel:DWORD dst_unused:UNUSED_PAD src0_sel:DWORD src1_sel:WORD_1
	v_mul_f16_sdwa v95, v42, v1 dst_sel:DWORD dst_unused:UNUSED_PAD src0_sel:DWORD src1_sel:WORD_1
	v_mul_f16_sdwa v96, v41, v2 dst_sel:DWORD dst_unused:UNUSED_PAD src0_sel:DWORD src1_sel:WORD_1
	v_mul_f16_sdwa v97, v71, v1 dst_sel:DWORD dst_unused:UNUSED_PAD src0_sel:DWORD src1_sel:WORD_1
	v_mul_f16_sdwa v98, v72, v7 dst_sel:DWORD dst_unused:UNUSED_PAD src0_sel:DWORD src1_sel:WORD_1
	v_mul_f16_sdwa v99, v46, v6 dst_sel:DWORD dst_unused:UNUSED_PAD src0_sel:DWORD src1_sel:WORD_1
	v_mul_f16_sdwa v100, v43, v7 dst_sel:DWORD dst_unused:UNUSED_PAD src0_sel:DWORD src1_sel:WORD_1
	v_mul_f16_sdwa v101, v73, v6 dst_sel:DWORD dst_unused:UNUSED_PAD src0_sel:DWORD src1_sel:WORD_1
	v_mul_f16_sdwa v102, v48, v8 dst_sel:DWORD dst_unused:UNUSED_PAD src0_sel:DWORD src1_sel:WORD_1
	v_mul_f16_sdwa v103, v74, v8 dst_sel:DWORD dst_unused:UNUSED_PAD src0_sel:DWORD src1_sel:WORD_1
	v_mul_f16_sdwa v104, v75, v12 dst_sel:DWORD dst_unused:UNUSED_PAD src0_sel:DWORD src1_sel:WORD_1
	v_mul_f16_sdwa v105, v76, v14 dst_sel:DWORD dst_unused:UNUSED_PAD src0_sel:DWORD src1_sel:WORD_1
	v_mul_f16_sdwa v106, v47, v12 dst_sel:DWORD dst_unused:UNUSED_PAD src0_sel:DWORD src1_sel:WORD_1
	v_mul_f16_sdwa v107, v50, v13 dst_sel:DWORD dst_unused:UNUSED_PAD src0_sel:DWORD src1_sel:WORD_1
	v_mul_f16_sdwa v108, v49, v14 dst_sel:DWORD dst_unused:UNUSED_PAD src0_sel:DWORD src1_sel:WORD_1
	v_mul_f16_sdwa v109, v77, v13 dst_sel:DWORD dst_unused:UNUSED_PAD src0_sel:DWORD src1_sel:WORD_1
	v_mul_f16_sdwa v67, v10, v78 dst_sel:DWORD dst_unused:UNUSED_PAD src0_sel:WORD_1 src1_sel:DWORD
	v_fmac_f16_e32 v87, v66, v4
	v_mul_f16_sdwa v66, v11, v79 dst_sel:DWORD dst_unused:UNUSED_PAD src0_sel:WORD_1 src1_sel:DWORD
	v_fmac_f16_e32 v89, v68, v5
	v_mul_f16_sdwa v68, v10, v36 dst_sel:DWORD dst_unused:UNUSED_PAD src0_sel:WORD_1 src1_sel:DWORD
	v_fma_f16 v3, v3, v38, -v88
	v_fma_f16 v4, v37, v4, -v90
	;; [unrolled: 1-line block ×3, first 2 shown]
	v_mul_f16_sdwa v37, v11, v51 dst_sel:DWORD dst_unused:UNUSED_PAD src0_sel:WORD_1 src1_sel:DWORD
	v_mul_f16_sdwa v38, v9, v55 dst_sel:DWORD dst_unused:UNUSED_PAD src0_sel:WORD_1 src1_sel:DWORD
	;; [unrolled: 1-line block ×3, first 2 shown]
	v_fma_f16 v39, v39, v0, -v92
	v_fma_f16 v41, v41, v2, -v93
	v_fmac_f16_e32 v94, v69, v0
	v_fmac_f16_e32 v95, v71, v1
	;; [unrolled: 1-line block ×3, first 2 shown]
	v_fma_f16 v0, v42, v1, -v97
	v_fma_f16 v1, v43, v7, -v98
	v_fmac_f16_e32 v99, v73, v6
	v_fmac_f16_e32 v100, v72, v7
	;; [unrolled: 1-line block ×3, first 2 shown]
	v_fma_f16 v2, v46, v6, -v101
	v_fma_f16 v6, v48, v8, -v103
	;; [unrolled: 1-line block ×4, first 2 shown]
	v_fmac_f16_e32 v106, v75, v12
	v_fmac_f16_e32 v107, v77, v13
	;; [unrolled: 1-line block ×3, first 2 shown]
	v_fma_f16 v12, v50, v13, -v109
	v_fma_f16 v13, v10, v36, -v67
	;; [unrolled: 1-line block ×3, first 2 shown]
	v_fmac_f16_e32 v68, v10, v78
	v_fmac_f16_e32 v37, v11, v79
	;; [unrolled: 1-line block ×3, first 2 shown]
	v_fma_f16 v9, v9, v55, -v40
	v_sub_f16_e32 v10, v56, v13
	v_sub_f16_e32 v4, v57, v4
	;; [unrolled: 1-line block ×20, first 2 shown]
	v_fma_f16 v49, v56, 2.0, -v10
	v_fma_f16 v50, v57, 2.0, -v4
	;; [unrolled: 1-line block ×5, first 2 shown]
	v_sub_f16_e32 v13, v10, v13
	v_add_f16_e32 v12, v14, v12
	v_fma_f16 v56, v81, 2.0, -v14
	v_fma_f16 v3, v3, 2.0, -v5
	;; [unrolled: 1-line block ×3, first 2 shown]
	v_sub_f16_e32 v36, v4, v36
	v_add_f16_e32 v5, v37, v5
	v_fma_f16 v58, v82, 2.0, -v37
	v_fma_f16 v39, v39, 2.0, -v40
	v_add_f16_e32 v40, v42, v40
	v_fma_f16 v55, v59, 2.0, -v1
	v_fma_f16 v59, v94, 2.0, -v41
	v_sub_f16_e32 v41, v0, v41
	v_fma_f16 v66, v83, 2.0, -v42
	v_fma_f16 v2, v2, 2.0, -v6
	v_add_f16_e32 v6, v43, v6
	v_fma_f16 v54, v54, 2.0, -v11
	v_fma_f16 v67, v84, 2.0, -v43
	;; [unrolled: 1-line block ×3, first 2 shown]
	v_sub_f16_e32 v46, v1, v46
	v_fma_f16 v7, v7, 2.0, -v8
	v_fma_f16 v69, v106, 2.0, -v48
	v_sub_f16_e32 v48, v11, v48
	v_add_f16_e32 v8, v47, v8
	v_fma_f16 v70, v85, 2.0, -v47
	v_fma_f16 v10, v10, 2.0, -v13
	;; [unrolled: 1-line block ×3, first 2 shown]
	v_pack_b32_f16 v12, v13, v12
	v_fma_f16 v4, v4, 2.0, -v36
	v_fma_f16 v13, v37, 2.0, -v5
	v_pack_b32_f16 v5, v36, v5
	v_fma_f16 v36, v42, 2.0, -v40
	v_sub_f16_e32 v9, v49, v9
	v_sub_f16_e32 v38, v56, v38
	;; [unrolled: 1-line block ×4, first 2 shown]
	v_pack_b32_f16 v37, v41, v40
	v_fma_f16 v40, v43, 2.0, -v6
	v_sub_f16_e32 v39, v51, v39
	v_sub_f16_e32 v43, v66, v59
	v_fma_f16 v0, v0, 2.0, -v41
	v_fma_f16 v1, v1, 2.0, -v46
	v_pack_b32_f16 v6, v46, v6
	v_fma_f16 v11, v11, 2.0, -v48
	v_fma_f16 v41, v47, 2.0, -v8
	v_pack_b32_f16 v8, v48, v8
	v_sub_f16_e32 v2, v55, v2
	v_sub_f16_e32 v46, v67, v68
	;; [unrolled: 1-line block ×4, first 2 shown]
	v_pack_b32_f16 v10, v10, v14
	v_fma_f16 v14, v49, 2.0, -v9
	v_fma_f16 v48, v56, 2.0, -v38
	v_pack_b32_f16 v9, v9, v38
	v_pack_b32_f16 v4, v4, v13
	v_fma_f16 v13, v50, 2.0, -v3
	v_fma_f16 v38, v58, 2.0, -v42
	v_pack_b32_f16 v3, v3, v42
	v_fma_f16 v42, v51, 2.0, -v39
	v_fma_f16 v49, v66, 2.0, -v43
	;; [unrolled: 1-line block ×6, first 2 shown]
	ds_write2_b32 v62, v12, v5 offset0:48 offset1:208
	v_pack_b32_f16 v12, v14, v48
	v_pack_b32_f16 v13, v13, v38
	ds_write2_b32 v60, v10, v4 offset0:16 offset1:176
	v_pack_b32_f16 v4, v42, v49
	v_pack_b32_f16 v0, v0, v36
	;; [unrolled: 1-line block ×7, first 2 shown]
	ds_write2_b32 v61, v9, v3 offset0:32 offset1:192
	v_pack_b32_f16 v3, v50, v51
	v_pack_b32_f16 v9, v54, v55
	ds_write2_b32 v26, v12, v13 offset1:160
	ds_write_b32 v15, v4
	ds_write_b32 v15, v0 offset:1600
	ds_write_b32 v15, v5 offset:3200
	;; [unrolled: 1-line block ×3, first 2 shown]
	ds_write2_b32 v63, v3, v9 offset0:16 offset1:176
	ds_write2_b32 v64, v1, v11 offset0:32 offset1:192
	;; [unrolled: 1-line block ×4, first 2 shown]
	s_waitcnt lgkmcnt(0)
	s_barrier
	buffer_gl0_inv
	s_clause 0x9
	global_load_dword v36, v[52:53], off offset:216
	global_load_dword v37, v[20:21], off offset:216
	;; [unrolled: 1-line block ×10, first 2 shown]
	ds_read2_b32 v[0:1], v35 offset0:64 offset1:224
	ds_read2_b32 v[2:3], v28 offset1:160
	ds_read2_b32 v[4:5], v33 offset0:64 offset1:224
	ds_read2_b32 v[6:7], v29 offset1:160
	ds_read2_b32 v[8:9], v26 offset1:160
	ds_read2_b32 v[10:11], v34 offset0:64 offset1:224
	ds_read2_b32 v[12:13], v32 offset0:64 offset1:224
	ds_read2_b32 v[14:15], v30 offset1:160
	ds_read2_b32 v[20:21], v27 offset1:160
	ds_read2_b32 v[22:23], v31 offset0:64 offset1:224
	s_waitcnt vmcnt(0) lgkmcnt(0)
	s_barrier
	buffer_gl0_inv
	v_lshrrev_b32_e32 v44, 16, v0
	v_lshrrev_b32_e32 v45, 16, v1
	;; [unrolled: 1-line block ×4, first 2 shown]
	v_mul_f16_sdwa v48, v44, v36 dst_sel:DWORD dst_unused:UNUSED_PAD src0_sel:DWORD src1_sel:WORD_1
	v_mul_f16_sdwa v49, v0, v36 dst_sel:DWORD dst_unused:UNUSED_PAD src0_sel:DWORD src1_sel:WORD_1
	v_pk_mul_f16 v52, v37, v4 op_sel:[0,1]
	v_pk_mul_f16 v53, v39, v5 op_sel:[0,1]
	v_mul_f16_sdwa v50, v45, v38 dst_sel:DWORD dst_unused:UNUSED_PAD src0_sel:DWORD src1_sel:WORD_1
	v_mul_f16_sdwa v51, v1, v38 dst_sel:DWORD dst_unused:UNUSED_PAD src0_sel:DWORD src1_sel:WORD_1
	v_pk_mul_f16 v54, v24, v6 op_sel:[0,1]
	v_pk_mul_f16 v55, v25, v7 op_sel:[0,1]
	;; [unrolled: 1-line block ×6, first 2 shown]
	v_fma_f16 v0, v0, v36, -v48
	v_fmac_f16_e32 v49, v44, v36
	v_pk_fma_f16 v36, v37, v4, v52 op_sel:[0,0,1] op_sel_hi:[1,1,0] neg_lo:[0,0,1] neg_hi:[0,0,1]
	v_pk_fma_f16 v4, v37, v4, v52 op_sel:[0,0,1] op_sel_hi:[1,0,0]
	v_pk_fma_f16 v37, v39, v5, v53 op_sel:[0,0,1] op_sel_hi:[1,1,0] neg_lo:[0,0,1] neg_hi:[0,0,1]
	v_pk_fma_f16 v5, v39, v5, v53 op_sel:[0,0,1] op_sel_hi:[1,0,0]
	v_fma_f16 v1, v1, v38, -v50
	v_fmac_f16_e32 v51, v45, v38
	v_pk_fma_f16 v38, v24, v6, v54 op_sel:[0,0,1] op_sel_hi:[1,1,0] neg_lo:[0,0,1] neg_hi:[0,0,1]
	v_pk_fma_f16 v6, v24, v6, v54 op_sel:[0,0,1] op_sel_hi:[1,0,0]
	v_pk_fma_f16 v24, v25, v7, v55 op_sel:[0,0,1] op_sel_hi:[1,1,0] neg_lo:[0,0,1] neg_hi:[0,0,1]
	v_pk_fma_f16 v7, v25, v7, v55 op_sel:[0,0,1] op_sel_hi:[1,0,0]
	;; [unrolled: 2-line block ×6, first 2 shown]
	v_bfi_b32 v4, 0xffff, v36, v4
	v_bfi_b32 v5, 0xffff, v37, v5
	;; [unrolled: 1-line block ×8, first 2 shown]
	v_sub_f16_e32 v0, v2, v0
	v_sub_f16_e32 v42, v46, v49
	;; [unrolled: 1-line block ×4, first 2 shown]
	v_pk_add_f16 v4, v8, v4 neg_lo:[0,1] neg_hi:[0,1]
	v_pk_add_f16 v5, v9, v5 neg_lo:[0,1] neg_hi:[0,1]
	;; [unrolled: 1-line block ×8, first 2 shown]
	v_fma_f16 v2, v2, 2.0, -v0
	v_fma_f16 v24, v46, 2.0, -v42
	;; [unrolled: 1-line block ×4, first 2 shown]
	v_pack_b32_f16 v0, v0, v42
	v_pack_b32_f16 v1, v1, v43
	v_pk_fma_f16 v8, v8, 2.0, v4 op_sel_hi:[1,0,1] neg_lo:[0,0,1] neg_hi:[0,0,1]
	v_pk_fma_f16 v9, v9, 2.0, v5 op_sel_hi:[1,0,1] neg_lo:[0,0,1] neg_hi:[0,0,1]
	;; [unrolled: 1-line block ×8, first 2 shown]
	ds_write2_b32 v33, v4, v5 offset0:64 offset1:224
	ds_write2_b32 v29, v6, v7 offset1:160
	ds_write2_b32 v34, v10, v11 offset0:64 offset1:224
	ds_write2_b32 v30, v14, v15 offset1:160
	v_pack_b32_f16 v2, v2, v24
	v_pack_b32_f16 v3, v3, v25
	ds_write2_b32 v35, v0, v1 offset0:64 offset1:224
	ds_write2_b32 v26, v8, v9 offset1:160
	ds_write2_b32 v32, v12, v13 offset0:64 offset1:224
	ds_write2_b32 v27, v20, v21 offset1:160
	ds_write2_b32 v31, v22, v23 offset0:64 offset1:224
	ds_write2_b32 v28, v2, v3 offset1:160
	s_waitcnt lgkmcnt(0)
	s_barrier
	buffer_gl0_inv
	s_and_saveexec_b32 s0, vcc_lo
	s_cbranch_execz .LBB0_19
; %bb.18:
	v_lshl_add_u32 v20, v16, 2, 0
	v_add_nc_u32_e32 v0, 0xa0, v16
	v_mov_b32_e32 v1, v17
	v_lshlrev_b64 v[4:5], 2, v[16:17]
	v_add_co_u32 v18, vcc_lo, s2, v18
	v_add_nc_u32_e32 v7, 0x400, v20
	ds_read2_b32 v[2:3], v20 offset1:160
	v_add_nc_u32_e32 v6, 0x140, v16
	v_add_co_ci_u32_e32 v19, vcc_lo, s3, v19, vcc_lo
	ds_read2_b32 v[8:9], v7 offset0:64 offset1:224
	v_mov_b32_e32 v7, v17
	v_lshlrev_b64 v[0:1], 2, v[0:1]
	v_add_co_u32 v4, vcc_lo, v18, v4
	v_add_co_ci_u32_e32 v5, vcc_lo, v19, v5, vcc_lo
	v_lshlrev_b64 v[6:7], 2, v[6:7]
	v_add_co_u32 v0, vcc_lo, v18, v0
	v_add_co_ci_u32_e32 v1, vcc_lo, v19, v1, vcc_lo
	v_add_nc_u32_e32 v10, 0x1e0, v16
	v_add_co_u32 v6, vcc_lo, v18, v6
	v_add_co_ci_u32_e32 v7, vcc_lo, v19, v7, vcc_lo
	v_mov_b32_e32 v11, v17
	s_waitcnt lgkmcnt(1)
	global_store_dword v[4:5], v2, off
	global_store_dword v[0:1], v3, off
	s_waitcnt lgkmcnt(0)
	global_store_dword v[6:7], v8, off
	v_add_nc_u32_e32 v6, 0xa00, v20
	v_add_nc_u32_e32 v8, 0xe00, v20
	;; [unrolled: 1-line block ×3, first 2 shown]
	v_mov_b32_e32 v3, v17
	v_lshlrev_b64 v[0:1], 2, v[10:11]
	ds_read2_b32 v[6:7], v6 offset1:160
	v_add_nc_u32_e32 v4, 0x320, v16
	v_mov_b32_e32 v5, v17
	ds_read2_b32 v[12:13], v8 offset0:64 offset1:224
	v_lshlrev_b64 v[2:3], 2, v[2:3]
	v_add_nc_u32_e32 v10, 0x3c0, v16
	v_add_co_u32 v0, vcc_lo, v18, v0
	v_lshlrev_b64 v[4:5], 2, v[4:5]
	v_add_co_ci_u32_e32 v1, vcc_lo, v19, v1, vcc_lo
	v_add_co_u32 v2, vcc_lo, v18, v2
	v_lshlrev_b64 v[10:11], 2, v[10:11]
	v_add_co_ci_u32_e32 v3, vcc_lo, v19, v3, vcc_lo
	v_add_co_u32 v4, vcc_lo, v18, v4
	v_add_co_ci_u32_e32 v5, vcc_lo, v19, v5, vcc_lo
	v_add_co_u32 v10, vcc_lo, v18, v10
	v_add_co_ci_u32_e32 v11, vcc_lo, v19, v11, vcc_lo
	v_add_nc_u32_e32 v14, 0x460, v16
	v_mov_b32_e32 v15, v17
	global_store_dword v[0:1], v9, off
	s_waitcnt lgkmcnt(1)
	global_store_dword v[2:3], v6, off
	global_store_dword v[4:5], v7, off
	s_waitcnt lgkmcnt(0)
	global_store_dword v[10:11], v12, off
	v_add_nc_u32_e32 v6, 0x1400, v20
	v_add_nc_u32_e32 v9, 0x1800, v20
	;; [unrolled: 1-line block ×3, first 2 shown]
	v_mov_b32_e32 v3, v17
	v_lshlrev_b64 v[0:1], 2, v[14:15]
	ds_read2_b32 v[6:7], v6 offset1:160
	v_add_nc_u32_e32 v4, 0x5a0, v16
	v_mov_b32_e32 v5, v17
	ds_read2_b32 v[10:11], v9 offset0:64 offset1:224
	v_lshlrev_b64 v[2:3], 2, v[2:3]
	v_add_nc_u32_e32 v8, 0x640, v16
	v_mov_b32_e32 v9, v17
	v_add_co_u32 v0, vcc_lo, v18, v0
	v_lshlrev_b64 v[4:5], 2, v[4:5]
	v_add_co_ci_u32_e32 v1, vcc_lo, v19, v1, vcc_lo
	v_add_co_u32 v2, vcc_lo, v18, v2
	v_lshlrev_b64 v[8:9], 2, v[8:9]
	v_add_co_ci_u32_e32 v3, vcc_lo, v19, v3, vcc_lo
	v_add_co_u32 v4, vcc_lo, v18, v4
	v_add_co_ci_u32_e32 v5, vcc_lo, v19, v5, vcc_lo
	v_add_co_u32 v8, vcc_lo, v18, v8
	v_add_co_ci_u32_e32 v9, vcc_lo, v19, v9, vcc_lo
	v_add_nc_u32_e32 v14, 0x6e0, v16
	global_store_dword v[0:1], v13, off
	s_waitcnt lgkmcnt(1)
	global_store_dword v[2:3], v6, off
	global_store_dword v[4:5], v7, off
	s_waitcnt lgkmcnt(0)
	global_store_dword v[8:9], v10, off
	v_add_nc_u32_e32 v6, 0x1e00, v20
	v_add_nc_u32_e32 v9, 0x2200, v20
	;; [unrolled: 1-line block ×3, first 2 shown]
	v_mov_b32_e32 v3, v17
	v_lshlrev_b64 v[0:1], 2, v[14:15]
	ds_read2_b32 v[6:7], v6 offset1:160
	v_add_nc_u32_e32 v4, 0x820, v16
	v_mov_b32_e32 v5, v17
	ds_read2_b32 v[12:13], v9 offset0:64 offset1:224
	v_lshlrev_b64 v[2:3], 2, v[2:3]
	v_add_nc_u32_e32 v8, 0x8c0, v16
	v_mov_b32_e32 v9, v17
	v_add_co_u32 v0, vcc_lo, v18, v0
	v_lshlrev_b64 v[4:5], 2, v[4:5]
	v_add_co_ci_u32_e32 v1, vcc_lo, v19, v1, vcc_lo
	v_add_co_u32 v2, vcc_lo, v18, v2
	v_lshlrev_b64 v[8:9], 2, v[8:9]
	v_add_co_ci_u32_e32 v3, vcc_lo, v19, v3, vcc_lo
	v_add_co_u32 v4, vcc_lo, v18, v4
	v_add_co_ci_u32_e32 v5, vcc_lo, v19, v5, vcc_lo
	v_add_co_u32 v8, vcc_lo, v18, v8
	v_add_co_ci_u32_e32 v9, vcc_lo, v19, v9, vcc_lo
	v_add_nc_u32_e32 v14, 0x960, v16
	global_store_dword v[0:1], v11, off
	s_waitcnt lgkmcnt(1)
	global_store_dword v[2:3], v6, off
	global_store_dword v[4:5], v7, off
	s_waitcnt lgkmcnt(0)
	global_store_dword v[8:9], v12, off
	v_add_nc_u32_e32 v6, 0x2800, v20
	v_add_nc_u32_e32 v2, 0xa00, v16
	v_mov_b32_e32 v3, v17
	v_add_nc_u32_e32 v10, 0x2c00, v20
	v_lshlrev_b64 v[0:1], 2, v[14:15]
	v_add_nc_u32_e32 v4, 0xaa0, v16
	v_mov_b32_e32 v5, v17
	ds_read2_b32 v[6:7], v6 offset1:160
	v_lshlrev_b64 v[2:3], 2, v[2:3]
	v_add_nc_u32_e32 v8, 0xb40, v16
	v_mov_b32_e32 v9, v17
	ds_read2_b32 v[10:11], v10 offset0:64 offset1:224
	v_add_co_u32 v0, vcc_lo, v18, v0
	v_lshlrev_b64 v[4:5], 2, v[4:5]
	v_add_nc_u32_e32 v16, 0xbe0, v16
	v_add_co_ci_u32_e32 v1, vcc_lo, v19, v1, vcc_lo
	v_add_co_u32 v2, vcc_lo, v18, v2
	v_lshlrev_b64 v[8:9], 2, v[8:9]
	v_add_co_ci_u32_e32 v3, vcc_lo, v19, v3, vcc_lo
	v_add_co_u32 v4, vcc_lo, v18, v4
	v_lshlrev_b64 v[14:15], 2, v[16:17]
	v_add_co_ci_u32_e32 v5, vcc_lo, v19, v5, vcc_lo
	v_add_co_u32 v8, vcc_lo, v18, v8
	v_add_co_ci_u32_e32 v9, vcc_lo, v19, v9, vcc_lo
	v_add_co_u32 v14, vcc_lo, v18, v14
	v_add_co_ci_u32_e32 v15, vcc_lo, v19, v15, vcc_lo
	global_store_dword v[0:1], v13, off
	s_waitcnt lgkmcnt(1)
	global_store_dword v[2:3], v6, off
	global_store_dword v[4:5], v7, off
	s_waitcnt lgkmcnt(0)
	global_store_dword v[8:9], v10, off
	global_store_dword v[14:15], v11, off
.LBB0_19:
	s_endpgm
	.section	.rodata,"a",@progbits
	.p2align	6, 0x0
	.amdhsa_kernel fft_rtc_fwd_len3200_factors_10_10_4_4_2_wgs_160_tpt_160_halfLds_half_ip_CI_unitstride_sbrr_C2R_dirReg
		.amdhsa_group_segment_fixed_size 0
		.amdhsa_private_segment_fixed_size 0
		.amdhsa_kernarg_size 88
		.amdhsa_user_sgpr_count 6
		.amdhsa_user_sgpr_private_segment_buffer 1
		.amdhsa_user_sgpr_dispatch_ptr 0
		.amdhsa_user_sgpr_queue_ptr 0
		.amdhsa_user_sgpr_kernarg_segment_ptr 1
		.amdhsa_user_sgpr_dispatch_id 0
		.amdhsa_user_sgpr_flat_scratch_init 0
		.amdhsa_user_sgpr_private_segment_size 0
		.amdhsa_wavefront_size32 1
		.amdhsa_uses_dynamic_stack 0
		.amdhsa_system_sgpr_private_segment_wavefront_offset 0
		.amdhsa_system_sgpr_workgroup_id_x 1
		.amdhsa_system_sgpr_workgroup_id_y 0
		.amdhsa_system_sgpr_workgroup_id_z 0
		.amdhsa_system_sgpr_workgroup_info 0
		.amdhsa_system_vgpr_workitem_id 0
		.amdhsa_next_free_vgpr 110
		.amdhsa_next_free_sgpr 21
		.amdhsa_reserve_vcc 1
		.amdhsa_reserve_flat_scratch 0
		.amdhsa_float_round_mode_32 0
		.amdhsa_float_round_mode_16_64 0
		.amdhsa_float_denorm_mode_32 3
		.amdhsa_float_denorm_mode_16_64 3
		.amdhsa_dx10_clamp 1
		.amdhsa_ieee_mode 1
		.amdhsa_fp16_overflow 0
		.amdhsa_workgroup_processor_mode 1
		.amdhsa_memory_ordered 1
		.amdhsa_forward_progress 0
		.amdhsa_shared_vgpr_count 0
		.amdhsa_exception_fp_ieee_invalid_op 0
		.amdhsa_exception_fp_denorm_src 0
		.amdhsa_exception_fp_ieee_div_zero 0
		.amdhsa_exception_fp_ieee_overflow 0
		.amdhsa_exception_fp_ieee_underflow 0
		.amdhsa_exception_fp_ieee_inexact 0
		.amdhsa_exception_int_div_zero 0
	.end_amdhsa_kernel
	.text
.Lfunc_end0:
	.size	fft_rtc_fwd_len3200_factors_10_10_4_4_2_wgs_160_tpt_160_halfLds_half_ip_CI_unitstride_sbrr_C2R_dirReg, .Lfunc_end0-fft_rtc_fwd_len3200_factors_10_10_4_4_2_wgs_160_tpt_160_halfLds_half_ip_CI_unitstride_sbrr_C2R_dirReg
                                        ; -- End function
	.section	.AMDGPU.csdata,"",@progbits
; Kernel info:
; codeLenInByte = 14296
; NumSgprs: 23
; NumVgprs: 110
; ScratchSize: 0
; MemoryBound: 0
; FloatMode: 240
; IeeeMode: 1
; LDSByteSize: 0 bytes/workgroup (compile time only)
; SGPRBlocks: 2
; VGPRBlocks: 13
; NumSGPRsForWavesPerEU: 23
; NumVGPRsForWavesPerEU: 110
; Occupancy: 9
; WaveLimiterHint : 1
; COMPUTE_PGM_RSRC2:SCRATCH_EN: 0
; COMPUTE_PGM_RSRC2:USER_SGPR: 6
; COMPUTE_PGM_RSRC2:TRAP_HANDLER: 0
; COMPUTE_PGM_RSRC2:TGID_X_EN: 1
; COMPUTE_PGM_RSRC2:TGID_Y_EN: 0
; COMPUTE_PGM_RSRC2:TGID_Z_EN: 0
; COMPUTE_PGM_RSRC2:TIDIG_COMP_CNT: 0
	.text
	.p2alignl 6, 3214868480
	.fill 48, 4, 3214868480
	.type	__hip_cuid_66ae8967f775bcf9,@object ; @__hip_cuid_66ae8967f775bcf9
	.section	.bss,"aw",@nobits
	.globl	__hip_cuid_66ae8967f775bcf9
__hip_cuid_66ae8967f775bcf9:
	.byte	0                               ; 0x0
	.size	__hip_cuid_66ae8967f775bcf9, 1

	.ident	"AMD clang version 19.0.0git (https://github.com/RadeonOpenCompute/llvm-project roc-6.4.0 25133 c7fe45cf4b819c5991fe208aaa96edf142730f1d)"
	.section	".note.GNU-stack","",@progbits
	.addrsig
	.addrsig_sym __hip_cuid_66ae8967f775bcf9
	.amdgpu_metadata
---
amdhsa.kernels:
  - .args:
      - .actual_access:  read_only
        .address_space:  global
        .offset:         0
        .size:           8
        .value_kind:     global_buffer
      - .offset:         8
        .size:           8
        .value_kind:     by_value
      - .actual_access:  read_only
        .address_space:  global
        .offset:         16
        .size:           8
        .value_kind:     global_buffer
      - .actual_access:  read_only
        .address_space:  global
        .offset:         24
        .size:           8
        .value_kind:     global_buffer
      - .offset:         32
        .size:           8
        .value_kind:     by_value
      - .actual_access:  read_only
        .address_space:  global
        .offset:         40
        .size:           8
        .value_kind:     global_buffer
      - .actual_access:  read_only
        .address_space:  global
        .offset:         48
        .size:           8
        .value_kind:     global_buffer
      - .offset:         56
        .size:           4
        .value_kind:     by_value
      - .actual_access:  read_only
        .address_space:  global
        .offset:         64
        .size:           8
        .value_kind:     global_buffer
      - .actual_access:  read_only
        .address_space:  global
        .offset:         72
        .size:           8
        .value_kind:     global_buffer
      - .address_space:  global
        .offset:         80
        .size:           8
        .value_kind:     global_buffer
    .group_segment_fixed_size: 0
    .kernarg_segment_align: 8
    .kernarg_segment_size: 88
    .language:       OpenCL C
    .language_version:
      - 2
      - 0
    .max_flat_workgroup_size: 160
    .name:           fft_rtc_fwd_len3200_factors_10_10_4_4_2_wgs_160_tpt_160_halfLds_half_ip_CI_unitstride_sbrr_C2R_dirReg
    .private_segment_fixed_size: 0
    .sgpr_count:     23
    .sgpr_spill_count: 0
    .symbol:         fft_rtc_fwd_len3200_factors_10_10_4_4_2_wgs_160_tpt_160_halfLds_half_ip_CI_unitstride_sbrr_C2R_dirReg.kd
    .uniform_work_group_size: 1
    .uses_dynamic_stack: false
    .vgpr_count:     110
    .vgpr_spill_count: 0
    .wavefront_size: 32
    .workgroup_processor_mode: 1
amdhsa.target:   amdgcn-amd-amdhsa--gfx1030
amdhsa.version:
  - 1
  - 2
...

	.end_amdgpu_metadata
